;; amdgpu-corpus repo=ROCm/rocFFT kind=compiled arch=gfx950 opt=O3
	.text
	.amdgcn_target "amdgcn-amd-amdhsa--gfx950"
	.amdhsa_code_object_version 6
	.protected	bluestein_single_back_len17_dim1_sp_op_CI_CI ; -- Begin function bluestein_single_back_len17_dim1_sp_op_CI_CI
	.globl	bluestein_single_back_len17_dim1_sp_op_CI_CI
	.p2align	8
	.type	bluestein_single_back_len17_dim1_sp_op_CI_CI,@function
bluestein_single_back_len17_dim1_sp_op_CI_CI: ; @bluestein_single_back_len17_dim1_sp_op_CI_CI
; %bb.0:
	s_load_dwordx4 s[12:15], s[0:1], 0x28
	s_mulk_i32 s2, 0x78
	v_add_u32_e32 v234, s2, v0
	v_mov_b32_e32 v235, 0
	s_movk_i32 s16, 0x78
	s_waitcnt lgkmcnt(0)
	v_cmp_gt_u64_e32 vcc, s[12:13], v[234:235]
	s_and_saveexec_b64 s[2:3], vcc
	s_cbranch_execz .LBB0_2
; %bb.1:
	s_load_dwordx4 s[8:11], s[0:1], 0x18
	s_load_dwordx2 vcc, s[0:1], 0x0
	v_mov_b32_e32 v0, s14
	v_mov_b32_e32 v1, s15
                                        ; implicit-def: $vgpr255 : SGPR spill to VGPR lane
	v_mov_b32_e32 v27, 0x50
	s_waitcnt lgkmcnt(0)
	s_load_dwordx4 s[4:7], s[8:9], 0x0
	v_writelane_b32 v255, s0, 0
	s_load_dwordx16 s[36:51], vcc, 0x0
	s_load_dwordx4 s[88:91], s[10:11], 0x0
	v_writelane_b32 v255, s1, 1
	s_waitcnt lgkmcnt(0)
	v_mad_u64_u32 v[2:3], s[2:3], s6, v234, 0
	v_mov_b32_e32 v4, v3
	v_mad_u64_u32 v[4:5], s[2:3], s7, v234, v[4:5]
	v_mov_b32_e32 v3, v4
	v_lshl_add_u64 v[0:1], v[2:3], 3, v[0:1]
	v_lshl_add_u64 v[4:5], s[4:5], 3, v[0:1]
	v_mad_u64_u32 v[8:9], s[2:3], s4, 24, v[0:1]
	global_load_dwordx2 v[2:3], v[0:1], off
	v_mov_b32_e32 v10, v9
	global_load_dwordx2 v[4:5], v[4:5], off
	v_mad_u64_u32 v[10:11], s[2:3], s5, 24, v[10:11]
	v_lshl_add_u64 v[6:7], s[4:5], 4, v[0:1]
	global_load_dwordx2 v[6:7], v[6:7], off
	v_mov_b32_e32 v9, v10
	global_load_dwordx2 v[8:9], v[8:9], off
	v_mad_u64_u32 v[10:11], s[2:3], s4, 40, v[0:1]
	v_mov_b32_e32 v12, v11
	v_mad_u64_u32 v[12:13], s[2:3], s5, 40, v[12:13]
	v_mov_b32_e32 v11, v12
	global_load_dwordx2 v[10:11], v[10:11], off
	s_mov_b32 s1, 0x88888889
	v_mul_hi_u32 v12, v234, s1
	v_lshrrev_b32_e32 v12, 6, v12
	s_lshl_b64 s[0:1], s[4:5], 5
	v_mul_lo_u32 v14, v12, s16
	v_lshl_add_u64 v[12:13], v[0:1], 0, s[0:1]
	global_load_dwordx2 v[12:13], v[12:13], off
	v_sub_u32_e32 v14, v234, v14
	v_mul_u32_u24_e32 v235, 0x88, v14
	v_mad_u64_u32 v[14:15], s[10:11], s4, 48, v[0:1]
	s_lshl_b64 s[8:9], s[4:5], 6
	v_mad_u64_u32 v[16:17], s[10:11], s4, 56, v[0:1]
	v_mov_b32_e32 v22, v15
	v_lshl_add_u64 v[18:19], v[0:1], 0, s[8:9]
	v_mov_b32_e32 v24, v17
	v_mad_u64_u32 v[22:23], s[8:9], s5, 48, v[22:23]
	v_mad_u64_u32 v[24:25], s[8:9], s5, 56, v[24:25]
	v_mov_b32_e32 v15, v22
	v_mov_b32_e32 v26, 0x58
	s_mov_b32 s0, s39
	s_mul_i32 s1, s5, 0x48
	v_mov_b32_e32 v17, v24
	global_load_dwordx2 v[22:23], v[14:15], off
	global_load_dwordx2 v[24:25], v[16:17], off
	v_mov_b32_e32 v20, 0x48
	v_mad_u64_u32 v[14:15], s[8:9], s4, v27, v[0:1]
	v_mad_u64_u32 v[16:17], s[8:9], s4, v26, v[0:1]
	;; [unrolled: 1-line block ×3, first 2 shown]
	s_mov_b32 s2, s43
	s_mov_b32 s6, s41
	s_mul_i32 s3, s5, 0x50
	s_mul_i32 s7, s5, 0x58
	v_add_u32_e32 v21, s1, v21
	global_load_dwordx2 v[18:19], v[18:19], off
	v_add_u32_e32 v15, s3, v15
	global_load_dwordx2 v[20:21], v[20:21], off
	v_add_u32_e32 v17, s7, v17
	v_mov_b32_e32 v254, 0x70
	s_mov_b32 s84, 0xbe3c28d5
	s_mov_b32 s92, 0xbf763a35
	;; [unrolled: 1-line block ×20, first 2 shown]
	s_waitcnt vmcnt(9)
	v_pk_mul_f32 v[26:27], v[2:3], s[36:37] op_sel_hi:[1,0]
	v_pk_mul_f32 v[2:3], v[2:3], s[36:37] op_sel:[0,1]
	s_waitcnt vmcnt(8)
	v_pk_mul_f32 v[28:29], v[4:5], s[38:39] op_sel_hi:[1,0]
	v_pk_mul_f32 v[4:5], v[4:5], s[0:1] op_sel_hi:[1,0]
	v_mov_b32_e32 v30, v3
	v_sub_f32_e32 v3, v27, v2
	v_mov_b32_e32 v31, v5
	v_mov_b32_e32 v27, v28
	v_pk_add_f32 v[26:27], v[26:27], v[30:31]
	s_waitcnt vmcnt(7)
	v_pk_mul_f32 v[34:35], v[6:7], s[40:41] op_sel_hi:[1,0]
	v_pk_mul_f32 v[6:7], v[6:7], s[6:7] op_sel_hi:[1,0]
	v_sub_f32_e32 v5, v29, v4
	v_mov_b32_e32 v2, v26
	v_mov_b32_e32 v4, v27
	s_waitcnt vmcnt(6)
	v_pk_mul_f32 v[26:27], v[8:9], s[42:43] op_sel_hi:[1,0]
	v_pk_mul_f32 v[8:9], v[8:9], s[2:3] op_sel_hi:[1,0]
	v_mov_b32_e32 v28, v7
	v_sub_f32_e32 v7, v35, v6
	v_mov_b32_e32 v29, v9
	v_mov_b32_e32 v35, v26
	ds_write2_b64 v235, v[2:3], v[4:5] offset1:1
	v_pk_add_f32 v[4:5], v[34:35], v[28:29]
	v_sub_f32_e32 v3, v27, v8
	v_mov_b32_e32 v6, v4
	v_mov_b32_e32 v4, 0x60
	global_load_dwordx2 v[8:9], v[14:15], off
	global_load_dwordx2 v[26:27], v[16:17], off
	v_mov_b32_e32 v2, v5
	v_mad_u64_u32 v[4:5], s[0:1], s4, v4, v[0:1]
	ds_write2_b64 v235, v[6:7], v[2:3] offset0:2 offset1:3
	s_mul_i32 s0, s5, 0x60
	v_mov_b32_e32 v6, 0x68
	v_add_u32_e32 v5, s0, v5
	v_mad_u64_u32 v[6:7], s[0:1], s4, v6, v[0:1]
	s_mul_i32 s0, s5, 0x68
	s_nop 0
	v_add_u32_e32 v7, s0, v7
	global_load_dwordx2 v[14:15], v[4:5], off
	global_load_dwordx2 v[16:17], v[6:7], off
	s_mov_b32 s0, s47
	s_waitcnt vmcnt(9)
	v_pk_mul_f32 v[2:3], v[10:11], s[46:47] op_sel_hi:[1,0]
	v_pk_mul_f32 v[6:7], v[10:11], s[0:1] op_sel_hi:[1,0]
	v_mad_u64_u32 v[10:11], s[2:3], s4, v254, v[0:1]
	s_mul_i32 s1, s5, 0x70
	v_mov_b32_e32 v28, 0x78
	v_add_u32_e32 v11, s1, v11
	v_mad_u64_u32 v[28:29], s[2:3], s4, v28, v[0:1]
	s_mul_i32 s1, s5, 0x78
	v_add_u32_e32 v29, s1, v29
	global_load_dwordx2 v[30:31], v[10:11], off
	global_load_dwordx2 v[34:35], v[28:29], off
	s_mov_b32 s0, s45
	s_waitcnt vmcnt(10)
	v_pk_mul_f32 v[10:11], v[12:13], s[0:1] op_sel_hi:[1,0]
	s_lshl_b64 s[0:1], s[4:5], 7
	v_lshl_add_u64 v[0:1], v[0:1], 0, s[0:1]
	global_load_dwordx2 v[0:1], v[0:1], off
	v_pk_mul_f32 v[4:5], v[12:13], s[44:45] op_sel_hi:[1,0]
	v_mov_b32_e32 v12, v11
	v_mov_b32_e32 v13, v7
	;; [unrolled: 1-line block ×4, first 2 shown]
	v_pk_add_f32 v[12:13], v[28:29], v[12:13]
	s_mov_b32 s0, s49
	s_load_dwordx16 s[8:23], vcc, 0x40
	v_sub_f32_e32 v3, v3, v6
	v_sub_f32_e32 v5, v5, v10
	v_mov_b32_e32 v4, v12
	v_mov_b32_e32 v2, v13
	s_waitcnt vmcnt(10)
	v_pk_mul_f32 v[6:7], v[22:23], s[0:1] op_sel_hi:[1,0]
	s_mov_b32 s0, s51
	ds_write2_b64 v235, v[4:5], v[2:3] offset0:4 offset1:5
	v_pk_mul_f32 v[2:3], v[22:23], s[48:49] op_sel_hi:[1,0]
	s_waitcnt vmcnt(9)
	v_pk_mul_f32 v[4:5], v[24:25], s[50:51] op_sel_hi:[1,0]
	v_pk_mul_f32 v[10:11], v[24:25], s[0:1] op_sel_hi:[1,0]
	v_mov_b32_e32 v12, v7
	v_mov_b32_e32 v13, v11
	;; [unrolled: 1-line block ×4, first 2 shown]
	v_pk_add_f32 v[12:13], v[22:23], v[12:13]
	v_sub_f32_e32 v5, v5, v10
	v_sub_f32_e32 v3, v3, v6
	v_mov_b32_e32 v2, v12
	v_mov_b32_e32 v4, v13
	s_waitcnt lgkmcnt(0)
	s_mov_b32 s0, s11
	ds_write2_b64 v235, v[2:3], v[4:5] offset0:6 offset1:7
	s_waitcnt vmcnt(7)
	v_pk_mul_f32 v[2:3], v[20:21], s[10:11] op_sel_hi:[1,0]
	v_pk_mul_f32 v[4:5], v[18:19], s[8:9] op_sel_hi:[1,0]
	;; [unrolled: 1-line block ×3, first 2 shown]
	v_pk_mul_f32 v[10:11], v[18:19], s[8:9] op_sel:[0,1]
	v_mov_b32_e32 v13, v7
	v_mov_b32_e32 v12, v11
	;; [unrolled: 1-line block ×4, first 2 shown]
	v_pk_add_f32 v[12:13], v[18:19], v[12:13]
	s_mov_b32 s0, s13
	v_sub_f32_e32 v3, v3, v6
	v_sub_f32_e32 v5, v5, v10
	v_mov_b32_e32 v4, v12
	v_mov_b32_e32 v2, v13
	ds_write2_b64 v235, v[4:5], v[2:3] offset0:8 offset1:9
	s_load_dwordx16 s[52:67], vcc, 0x80
	s_mov_b32 s2, 0xbf06c442
	s_mov_b32 s3, 0xbf59a7d5
	;; [unrolled: 1-line block ×3, first 2 shown]
	s_waitcnt vmcnt(6)
	v_pk_mul_f32 v[6:7], v[8:9], s[0:1] op_sel_hi:[1,0]
	s_mov_b32 s0, s15
	v_pk_mul_f32 v[2:3], v[8:9], s[12:13] op_sel_hi:[1,0]
	s_waitcnt vmcnt(5)
	v_pk_mul_f32 v[4:5], v[26:27], s[14:15] op_sel_hi:[1,0]
	v_pk_mul_f32 v[8:9], v[26:27], s[0:1] op_sel_hi:[1,0]
	v_mov_b32_e32 v10, v7
	v_mov_b32_e32 v11, v9
	;; [unrolled: 1-line block ×4, first 2 shown]
	v_pk_add_f32 v[10:11], v[12:13], v[10:11]
	s_mov_b32 s0, s17
	v_sub_f32_e32 v5, v5, v8
	v_sub_f32_e32 v3, v3, v6
	v_mov_b32_e32 v2, v10
	v_mov_b32_e32 v4, v11
	s_waitcnt vmcnt(4)
	v_pk_mul_f32 v[6:7], v[14:15], s[0:1] op_sel_hi:[1,0]
	s_mov_b32 s0, s19
	ds_write2_b64 v235, v[2:3], v[4:5] offset0:10 offset1:11
	v_pk_mul_f32 v[2:3], v[14:15], s[16:17] op_sel_hi:[1,0]
	s_waitcnt vmcnt(3)
	v_pk_mul_f32 v[4:5], v[16:17], s[18:19] op_sel_hi:[1,0]
	v_pk_mul_f32 v[8:9], v[16:17], s[0:1] op_sel_hi:[1,0]
	v_mov_b32_e32 v10, v7
	v_mov_b32_e32 v11, v9
	;; [unrolled: 1-line block ×4, first 2 shown]
	v_pk_add_f32 v[10:11], v[12:13], v[10:11]
	s_mov_b32 s0, s21
	v_sub_f32_e32 v5, v5, v8
	v_sub_f32_e32 v3, v3, v6
	v_mov_b32_e32 v2, v10
	v_mov_b32_e32 v4, v11
	s_waitcnt vmcnt(2)
	v_pk_mul_f32 v[6:7], v[30:31], s[0:1] op_sel_hi:[1,0]
	s_mov_b32 s0, s23
	ds_write2_b64 v235, v[2:3], v[4:5] offset0:12 offset1:13
	v_pk_mul_f32 v[2:3], v[30:31], s[20:21] op_sel_hi:[1,0]
	s_waitcnt vmcnt(1)
	v_pk_mul_f32 v[4:5], v[34:35], s[22:23] op_sel_hi:[1,0]
	v_pk_mul_f32 v[8:9], v[34:35], s[0:1] op_sel_hi:[1,0]
	v_mov_b32_e32 v10, v7
	v_mov_b32_e32 v11, v9
	;; [unrolled: 1-line block ×4, first 2 shown]
	v_pk_add_f32 v[10:11], v[12:13], v[10:11]
	v_sub_f32_e32 v5, v5, v8
	v_sub_f32_e32 v3, v3, v6
	v_mov_b32_e32 v2, v10
	v_mov_b32_e32 v4, v11
	s_waitcnt lgkmcnt(0)
	v_writelane_b32 v255, s52, 2
	ds_write2_b64 v235, v[2:3], v[4:5] offset0:14 offset1:15
	s_mov_b32 s0, 0xbeb8f4ab
	s_waitcnt vmcnt(0)
	v_mul_f32_e32 v2, s53, v1
	v_fmac_f32_e32 v2, s52, v0
	v_mul_f32_e32 v0, s53, v0
	v_fma_f32 v3, v1, s52, -v0
	ds_write_b64 v235, v[2:3] offset:128
	s_waitcnt lgkmcnt(0)
	s_barrier
	ds_read2_b64 v[20:23], v235 offset0:6 offset1:7
	ds_read2_b64 v[162:165], v235 offset0:8 offset1:9
	;; [unrolled: 1-line block ×5, first 2 shown]
	ds_read_b64 v[126:127], v235 offset:128
	ds_read2_b64 v[24:27], v235 offset0:4 offset1:5
	ds_read2_b64 v[58:61], v235 offset1:1
	ds_read2_b64 v[28:31], v235 offset0:2 offset1:3
	s_mov_b32 s1, 0x3f6eb680
	s_mov_b32 s70, s1
	;; [unrolled: 1-line block ×3, first 2 shown]
	s_waitcnt lgkmcnt(1)
	v_pk_add_f32 v[32:33], v[126:127], v[60:61]
	v_pk_add_f32 v[34:35], v[60:61], v[126:127] neg_lo:[0,1] neg_hi:[0,1]
	v_mov_b32_e32 v81, v33
	v_mov_b32_e32 v33, v34
	;; [unrolled: 1-line block ×3, first 2 shown]
	v_pk_mul_f32 v[6:7], v[32:33], s[70:71]
	s_waitcnt lgkmcnt(0)
	v_pk_add_f32 v[78:79], v[4:5], v[28:29]
	v_pk_fma_f32 v[130:131], v[80:81], s[0:1], v[6:7] neg_lo:[1,0,0] neg_hi:[1,0,0]
	v_pk_fma_f32 v[102:103], v[80:81], s[0:1], v[6:7]
	s_mov_b32 s0, 0xbf2c7751
	v_pk_add_f32 v[40:41], v[28:29], v[4:5] neg_lo:[0,1] neg_hi:[0,1]
	s_mov_b32 s1, 0x3f3d2fb0
	v_accvgpr_write_b32 a0, v6
	v_mov_b32_e32 v39, v79
	v_mov_b32_e32 v79, v40
	s_mov_b32 s4, s1
	s_mov_b32 s5, s0
	v_accvgpr_write_b32 a1, v7
	v_mov_b32_e32 v38, v41
	v_pk_mul_f32 v[6:7], v[78:79], s[4:5]
	v_pk_add_f32 v[74:75], v[2:3], v[30:31]
	v_pk_fma_f32 v[132:133], v[38:39], s[0:1], v[6:7] neg_lo:[1,0,0] neg_hi:[1,0,0]
	v_pk_fma_f32 v[100:101], v[38:39], s[0:1], v[6:7]
	s_mov_b32 s0, 0xbf65296c
	v_pk_add_f32 v[46:47], v[30:31], v[2:3] neg_lo:[0,1] neg_hi:[0,1]
	s_mov_b32 s1, 0x3ee437d1
	v_accvgpr_write_b32 a2, v6
	v_mov_b32_e32 v45, v75
	v_mov_b32_e32 v75, v46
	s_mov_b32 s34, s1
	s_mov_b32 s35, s0
	v_accvgpr_write_b32 a3, v7
	v_mov_b32_e32 v44, v47
	v_pk_mul_f32 v[6:7], v[74:75], s[34:35]
	;; [unrolled: 14-line block ×3, first 2 shown]
	v_pk_add_f32 v[70:71], v[12:13], v[26:27]
	v_pk_fma_f32 v[136:137], v[50:51], s[0:1], v[6:7] neg_lo:[1,0,0] neg_hi:[1,0,0]
	v_pk_fma_f32 v[88:89], v[50:51], s[0:1], v[6:7]
	s_mov_b32 s0, 0xbf763a35
	v_pk_add_f32 v[0:1], v[26:27], v[12:13] neg_lo:[0,1] neg_hi:[0,1]
	s_mov_b32 s1, 0xbe8c1d8e
	v_mov_b32_e32 v57, v71
	v_mov_b32_e32 v71, v0
	s_mov_b32 s68, s1
	s_mov_b32 s69, s0
	v_mov_b32_e32 v56, v1
	v_pk_mul_f32 v[0:1], v[70:71], s[68:69]
	v_pk_add_f32 v[68:69], v[10:11], v[20:21]
	v_pk_fma_f32 v[138:139], v[56:57], s[0:1], v[0:1] neg_lo:[1,0,0] neg_hi:[1,0,0]
	v_pk_fma_f32 v[84:85], v[56:57], s[0:1], v[0:1]
	s_mov_b32 s1, 0x3e3c28d5
	s_mov_b32 s0, s85
	v_pk_add_f32 v[76:77], v[20:21], v[10:11] neg_lo:[0,1] neg_hi:[0,1]
	v_accvgpr_write_b32 a9, v1
	v_pk_mul_f32 v[16:17], v[74:75], s[0:1]
	s_mov_b32 s0, s3
	s_mov_b32 s1, s6
	v_accvgpr_write_b32 a6, v6
	v_accvgpr_write_b32 a8, v0
	v_mov_b32_e32 v63, v69
	v_mov_b32_e32 v69, v76
	v_pk_mul_f32 v[0:1], v[70:71], s[0:1]
	v_pk_mul_f32 v[122:123], v[78:79], s[0:1]
	s_mov_b32 s0, s93
	s_mov_b32 s1, s92
	v_accvgpr_write_b32 a7, v7
	v_pk_mul_f32 v[6:7], v[68:69], s[0:1]
	v_pk_mul_f32 v[36:37], v[72:73], s[0:1]
	;; [unrolled: 1-line block ×4, first 2 shown]
	s_mov_b32 s0, 0xbf4c4adb
	s_mov_b32 s1, 0xbf1a4643
	;; [unrolled: 1-line block ×4, first 2 shown]
	v_mov_b32_e32 v62, v77
	v_pk_mul_f32 v[18:19], v[68:69], s[74:75]
	v_pk_add_f32 v[66:67], v[8:9], v[22:23]
	v_pk_fma_f32 v[140:141], v[62:63], s[0:1], v[18:19] neg_lo:[1,0,0] neg_hi:[1,0,0]
	v_pk_fma_f32 v[86:87], v[62:63], s[0:1], v[18:19]
	s_mov_b32 s0, 0xbf06c442
	v_pk_add_f32 v[92:93], v[22:23], v[8:9] neg_lo:[0,1] neg_hi:[0,1]
	v_pk_add_f32 v[120:121], v[58:59], v[60:61]
	s_mov_b32 s1, 0xbf59a7d5
	v_accvgpr_write_b32 a10, v18
	v_mov_b32_e32 v91, v67
	v_mov_b32_e32 v67, v92
	s_mov_b32 s76, s1
	s_mov_b32 s77, s0
	v_pk_add_f32 v[142:143], v[120:121], v[28:29]
	v_accvgpr_write_b32 a11, v19
	v_mov_b32_e32 v90, v93
	v_pk_mul_f32 v[18:19], v[66:67], s[76:77]
	v_pk_add_f32 v[30:31], v[142:143], v[30:31]
	v_pk_fma_f32 v[144:145], v[90:91], s[0:1], v[18:19] neg_lo:[1,0,0] neg_hi:[1,0,0]
	v_pk_fma_f32 v[92:93], v[90:91], s[0:1], v[18:19]
	s_mov_b32 s0, 0xbf2c7751
	v_pk_add_f32 v[30:31], v[30:31], v[24:25]
	v_pk_mul_f32 v[114:115], v[32:33], s[4:5]
	s_mov_b32 s1, 0x3f3d2fb0
	v_pk_add_f32 v[26:27], v[30:31], v[26:27]
	v_pk_fma_f32 v[146:147], v[80:81], s[0:1], v[114:115] neg_lo:[1,0,0] neg_hi:[1,0,0]
	v_pk_fma_f32 v[108:109], v[80:81], s[0:1], v[114:115]
	s_mov_b32 s0, 0xbf7ee86f
	v_pk_add_f32 v[26:27], v[26:27], v[20:21]
	v_pk_mul_f32 v[116:117], v[78:79], s[72:73]
	s_mov_b32 s1, 0x3dbcf732
	v_pk_add_f32 v[22:23], v[26:27], v[22:23]
	v_pk_fma_f32 v[148:149], v[38:39], s[0:1], v[116:117] neg_lo:[1,0,0] neg_hi:[1,0,0]
	v_pk_fma_f32 v[110:111], v[38:39], s[0:1], v[116:117]
	s_mov_b32 s0, 0x3f06c442
	s_mov_b32 s1, s99
	v_accvgpr_write_b32 a17, v1
	v_pk_add_f32 v[160:161], v[22:23], v[162:163]
	v_accvgpr_write_b32 a19, v7
	v_pk_fma_f32 v[156:157], v[56:57], s[0:1], v[0:1] neg_lo:[1,0,0] neg_hi:[1,0,0]
	v_pk_fma_f32 v[60:61], v[56:57], s[0:1], v[0:1]
	v_accvgpr_write_b32 a16, v0
	v_mov_b64_e32 v[0:1], v[6:7]
	v_accvgpr_write_b32 a18, v6
	v_pk_add_f32 v[6:7], v[160:161], v[164:165]
	v_writelane_b32 v255, s53, 3
	v_pk_add_f32 v[8:9], v[6:7], v[8:9]
	v_writelane_b32 v255, s54, 4
	;; [unrolled: 2-line block ×5, first 2 shown]
	v_pk_add_f32 v[64:65], v[164:165], v[162:163]
	v_pk_add_f32 v[98:99], v[162:163], v[164:165] neg_lo:[0,1] neg_hi:[0,1]
	v_pk_add_f32 v[10:11], v[10:11], v[2:3]
	v_writelane_b32 v255, s58, 8
	v_accvgpr_write_b32 a12, v18
	v_mov_b32_e32 v97, v65
	v_mov_b32_e32 v65, v98
	v_pk_add_f32 v[12:13], v[10:11], v[4:5]
	v_mov_b32_e32 v131, v103
	v_writelane_b32 v255, s59, 9
	v_accvgpr_write_b32 a13, v19
	v_pk_mul_f32 v[18:19], v[64:65], s[78:79]
	v_pk_add_f32 v[168:169], v[12:13], v[126:127]
	v_pk_add_f32 v[12:13], v[58:59], v[130:131]
	v_mov_b32_e32 v133, v101
	v_writelane_b32 v255, s60, 10
	v_mov_b32_e32 v96, v99
	v_accvgpr_write_b32 a14, v18
	v_pk_add_f32 v[14:15], v[132:133], v[12:13]
	v_mov_b32_e32 v135, v95
	v_writelane_b32 v255, s61, 11
	v_pk_fma_f32 v[150:151], v[96:97], s[84:85], v[18:19] neg_lo:[1,0,0] neg_hi:[1,0,0]
	v_pk_fma_f32 v[98:99], v[96:97], s[84:85], v[18:19]
	v_accvgpr_write_b32 a15, v19
	v_pk_add_f32 v[18:19], v[134:135], v[14:15]
	v_mov_b32_e32 v137, v89
	v_writelane_b32 v255, s62, 12
	v_pk_add_f32 v[18:19], v[136:137], v[18:19]
	v_mov_b32_e32 v139, v85
	v_writelane_b32 v255, s63, 13
	;; [unrolled: 3-line block ×5, first 2 shown]
	v_pk_mul_f32 v[34:35], v[32:33], s[34:35]
	v_pk_mul_f32 v[118:119], v[74:75], s[74:75]
	v_pk_add_f32 v[134:135], v[150:151], v[126:127]
	v_mov_b32_e32 v147, v109
	v_writelane_b32 v255, s67, 17
	s_mov_b32 s54, 0xbf2c7751
	v_pk_fma_f32 v[152:153], v[44:45], s[26:27], v[118:119] neg_lo:[1,0,0] neg_hi:[1,0,0]
	v_pk_fma_f32 v[82:83], v[44:45], s[26:27], v[118:119]
	v_pk_mul_f32 v[120:121], v[72:73], s[78:79]
	v_pk_fma_f32 v[164:165], v[80:81], s[82:83], v[34:35] neg_lo:[1,0,0] neg_hi:[1,0,0]
	v_pk_fma_f32 v[46:47], v[80:81], s[82:83], v[34:35]
	v_pk_mul_f32 v[104:105], v[78:79], s[74:75]
	ds_write2_b64 v235, v[168:169], v[134:135] offset1:1
	v_mov_b32_e32 v149, v111
	v_pk_add_f32 v[134:135], v[58:59], v[146:147]
	v_pk_mul_f32 v[232:233], v[70:71], s[34:35]
	v_pk_mul_f32 v[124:125], v[72:73], s[34:35]
	s_mov_b32 s55, 0x3f3d2fb0
	v_pk_fma_f32 v[154:155], v[50:51], s[84:85], v[120:121] neg_lo:[1,0,0] neg_hi:[1,0,0]
	v_pk_fma_f32 v[76:77], v[50:51], s[84:85], v[120:121]
	s_mov_b64 s[34:35], s[0:1]
	v_pk_fma_f32 v[166:167], v[38:39], s[26:27], v[104:105] neg_lo:[1,0,0] neg_hi:[1,0,0]
	v_pk_fma_f32 v[42:43], v[38:39], s[26:27], v[104:105]
	s_mov_b32 s0, 0x3e3c28d5
	s_mov_b32 s1, s85
	v_pk_add_f32 v[138:139], v[148:149], v[134:135]
	v_mov_b32_e32 v153, v83
	v_mov_b32_e32 v165, v47
	v_pk_fma_f32 v[158:159], v[62:63], s[92:93], v[0:1] neg_lo:[1,0,0] neg_hi:[1,0,0]
	v_pk_fma_f32 v[54:55], v[62:63], s[92:93], v[0:1]
	s_mov_b32 s94, 0x3eb8f4ab
	v_writelane_b32 v255, s0, 18
	v_mov_b64_e32 v[0:1], v[36:37]
	s_mov_b32 s82, s55
	v_pk_fma_f32 v[170:171], v[44:45], s[0:1], v[16:17] neg_lo:[1,0,0] neg_hi:[1,0,0]
	v_pk_fma_f32 v[40:41], v[44:45], s[0:1], v[16:17]
	s_mov_b32 s83, s96
	v_pk_add_f32 v[138:139], v[152:153], v[138:139]
	v_mov_b32_e32 v155, v77
	v_mov_b32_e32 v167, v43
	v_pk_add_f32 v[146:147], v[58:59], v[164:165]
	v_pk_mul_f32 v[142:143], v[68:69], s[4:5]
	v_pk_mul_f32 v[112:113], v[66:67], s[80:81]
	s_mov_b32 s4, s95
	s_mov_b32 s5, s94
	v_accvgpr_write_b32 a20, v34
	v_writelane_b32 v255, s1, 19
	v_pk_fma_f32 v[172:173], v[50:51], s[92:93], v[0:1] neg_lo:[1,0,0] neg_hi:[1,0,0]
	v_pk_fma_f32 v[36:37], v[50:51], s[92:93], v[0:1]
	v_pk_mul_f32 v[130:131], v[70:71], s[82:83]
	s_mov_b32 s97, s55
	s_mov_b32 s0, 0xbeb8f4ab
	v_pk_add_f32 v[138:139], v[154:155], v[138:139]
	v_mov_b32_e32 v157, v61
	v_pk_add_f32 v[146:147], v[166:167], v[146:147]
	v_mov_b32_e32 v171, v41
	s_mov_b32 s30, 0xbf7ee86f
	v_pk_fma_f32 v[162:163], v[90:91], s[86:87], v[112:113] neg_lo:[1,0,0] neg_hi:[1,0,0]
	v_pk_fma_f32 v[52:53], v[90:91], s[86:87], v[112:113]
	v_pk_mul_f32 v[106:107], v[64:65], s[4:5]
	v_accvgpr_write_b32 a21, v35
	v_pk_fma_f32 v[174:175], v[56:57], s[96:97], v[130:131] neg_lo:[1,0,0] neg_hi:[1,0,0]
	v_pk_fma_f32 v[34:35], v[56:57], s[96:97], v[130:131]
	v_pk_mul_f32 v[132:133], v[68:69], s[70:71]
	s_mov_b32 s1, 0x3f6eb680
	v_pk_add_f32 v[144:145], v[156:157], v[138:139]
	v_mov_b32_e32 v159, v55
	v_pk_add_f32 v[146:147], v[170:171], v[146:147]
	v_mov_b32_e32 v173, v37
	s_mov_b32 s31, 0x3dbcf732
	v_pk_fma_f32 v[160:161], v[96:97], s[94:95], v[106:107] neg_lo:[1,0,0] neg_hi:[1,0,0]
	v_pk_fma_f32 v[48:49], v[96:97], s[94:95], v[106:107]
	v_pk_fma_f32 v[176:177], v[62:63], s[0:1], v[132:133] neg_lo:[1,0,0] neg_hi:[1,0,0]
	v_pk_fma_f32 v[126:127], v[62:63], s[0:1], v[132:133]
	v_pk_mul_f32 v[136:137], v[66:67], s[72:73]
	v_pk_add_f32 v[144:145], v[158:159], v[144:145]
	v_mov_b32_e32 v163, v53
	v_pk_add_f32 v[148:149], v[172:173], v[146:147]
	v_mov_b32_e32 v175, v35
	v_pk_fma_f32 v[168:169], v[90:91], s[30:31], v[136:137] neg_lo:[1,0,0] neg_hi:[1,0,0]
	v_pk_fma_f32 v[134:135], v[90:91], s[30:31], v[136:137]
	v_pk_mul_f32 v[140:141], v[64:65], s[76:77]
	v_pk_mul_f32 v[150:151], v[32:33], s[72:73]
	v_pk_add_f32 v[144:145], v[162:163], v[144:145]
	v_mov_b32_e32 v161, v49
	v_pk_add_f32 v[148:149], v[174:175], v[148:149]
	v_mov_b32_e32 v177, v127
	v_pk_fma_f32 v[152:153], v[96:97], s[98:99], v[140:141] neg_lo:[1,0,0] neg_hi:[1,0,0]
	v_pk_fma_f32 v[138:139], v[96:97], s[98:99], v[140:141]
	v_pk_fma_f32 v[156:157], v[80:81], s[30:31], v[150:151] neg_lo:[1,0,0] neg_hi:[1,0,0]
	v_pk_add_f32 v[158:159], v[160:161], v[144:145]
	v_pk_fma_f32 v[144:145], v[80:81], s[30:31], v[150:151]
	v_pk_mul_f32 v[154:155], v[78:79], s[78:79]
	v_pk_add_f32 v[160:161], v[176:177], v[148:149]
	v_mov_b32_e32 v169, v135
	v_pk_fma_f32 v[162:163], v[38:39], s[84:85], v[154:155] neg_lo:[1,0,0] neg_hi:[1,0,0]
	v_pk_fma_f32 v[146:147], v[38:39], s[84:85], v[154:155]
	v_pk_add_f32 v[166:167], v[168:169], v[160:161]
	v_mov_b32_e32 v153, v139
	v_mov_b32_e32 v157, v145
	v_pk_fma_f32 v[164:165], v[44:45], s[92:93], v[230:231] neg_lo:[1,0,0] neg_hi:[1,0,0]
	v_pk_fma_f32 v[148:149], v[44:45], s[92:93], v[230:231]
	v_pk_mul_f32 v[160:161], v[72:73], s[4:5]
	v_pk_add_f32 v[166:167], v[152:153], v[166:167]
	v_mov_b32_e32 v163, v147
	v_pk_add_f32 v[156:157], v[58:59], v[156:157]
	s_mov_b32 s0, 0xbf65296c
	v_pk_fma_f32 v[168:169], v[50:51], s[94:95], v[160:161] neg_lo:[1,0,0] neg_hi:[1,0,0]
	v_pk_fma_f32 v[152:153], v[50:51], s[94:95], v[160:161]
	ds_write2_b64 v235, v[158:159], v[166:167] offset0:2 offset1:3
	s_mov_b32 s1, 0x3ee437d1
	v_pk_add_f32 v[158:159], v[162:163], v[156:157]
	v_mov_b32_e32 v165, v149
	v_pk_fma_f32 v[166:167], v[56:57], s[0:1], v[232:233] neg_lo:[1,0,0] neg_hi:[1,0,0]
	v_pk_fma_f32 v[156:157], v[56:57], s[0:1], v[232:233]
	v_pk_add_f32 v[158:159], v[164:165], v[158:159]
	v_mov_b32_e32 v169, v153
	v_pk_mul_f32 v[164:165], v[68:69], s[76:77]
	s_mov_b32 s6, 0x3f4c4adb
	v_pk_add_f32 v[162:163], v[168:169], v[158:159]
	v_mov_b32_e32 v167, v157
	v_pk_fma_f32 v[170:171], v[62:63], s[98:99], v[164:165] neg_lo:[1,0,0] neg_hi:[1,0,0]
	v_pk_fma_f32 v[158:159], v[62:63], s[98:99], v[164:165]
	s_mov_b32 s0, s27
	s_mov_b32 s1, s6
	v_pk_mul_f32 v[168:169], v[66:67], s[0:1]
	v_pk_add_f32 v[162:163], v[166:167], v[162:163]
	v_mov_b32_e32 v171, v159
	s_mov_b32 s7, s27
	v_pk_fma_f32 v[166:167], v[90:91], s[6:7], v[168:169] neg_lo:[1,0,0] neg_hi:[1,0,0]
	v_pk_add_f32 v[170:171], v[170:171], v[162:163]
	v_pk_fma_f32 v[162:163], v[90:91], s[6:7], v[168:169]
	s_mov_b32 s2, 0xbf763a35
	v_mov_b32_e32 v167, v163
	v_pk_add_f32 v[172:173], v[166:167], v[170:171]
	v_pk_mul_f32 v[170:171], v[64:65], s[82:83]
	v_pk_mul_f32 v[182:183], v[32:33], s[68:69]
	v_pk_fma_f32 v[174:175], v[96:97], s[96:97], v[170:171] neg_lo:[1,0,0] neg_hi:[1,0,0]
	v_pk_fma_f32 v[166:167], v[96:97], s[96:97], v[170:171]
	s_mov_b32 s3, 0xbe8c1d8e
	v_mov_b32_e32 v175, v167
	v_pk_add_f32 v[200:201], v[174:175], v[172:173]
	v_pk_fma_f32 v[176:177], v[80:81], s[2:3], v[182:183] neg_lo:[1,0,0] neg_hi:[1,0,0]
	v_pk_fma_f32 v[172:173], v[80:81], s[2:3], v[182:183]
	v_pk_fma_f32 v[178:179], v[38:39], s[34:35], v[122:123] neg_lo:[1,0,0] neg_hi:[1,0,0]
	v_mov_b32_e32 v177, v173
	v_pk_fma_f32 v[174:175], v[38:39], s[34:35], v[122:123]
	v_pk_add_f32 v[176:177], v[58:59], v[176:177]
	v_mov_b32_e32 v179, v175
	v_pk_mul_f32 v[186:187], v[74:75], s[82:83]
	s_mov_b32 s52, 0xbf65296c
	v_pk_add_f32 v[178:179], v[178:179], v[176:177]
	v_pk_fma_f32 v[180:181], v[44:45], s[96:97], v[186:187] neg_lo:[1,0,0] neg_hi:[1,0,0]
	v_pk_fma_f32 v[176:177], v[44:45], s[96:97], v[186:187]
	s_mov_b32 s53, 0x3ee437d1
	v_mov_b32_e32 v181, v177
	v_pk_add_f32 v[180:181], v[180:181], v[178:179]
	v_pk_fma_f32 v[184:185], v[50:51], s[52:53], v[124:125] neg_lo:[1,0,0] neg_hi:[1,0,0]
	v_pk_fma_f32 v[178:179], v[50:51], s[52:53], v[124:125]
	s_mov_b64 s[56:57], s[34:35]
	v_mov_b32_e32 v185, v179
	v_pk_mul_f32 v[190:191], v[70:71], s[78:79]
	s_mov_b32 s34, 0x3f7ee86f
	v_pk_add_f32 v[184:185], v[184:185], v[180:181]
	v_pk_fma_f32 v[188:189], v[56:57], s[84:85], v[190:191] neg_lo:[1,0,0] neg_hi:[1,0,0]
	v_pk_fma_f32 v[180:181], v[56:57], s[84:85], v[190:191]
	s_mov_b32 s2, s31
	s_mov_b32 s3, s34
	v_mov_b32_e32 v189, v181
	s_mov_b32 s35, s31
	v_pk_mul_f32 v[194:195], v[68:69], s[2:3]
	s_mov_b32 s24, 0xbeb8f4ab
	v_pk_add_f32 v[188:189], v[188:189], v[184:185]
	v_pk_fma_f32 v[192:193], v[62:63], s[34:35], v[194:195] neg_lo:[1,0,0] neg_hi:[1,0,0]
	v_pk_fma_f32 v[184:185], v[62:63], s[34:35], v[194:195]
	s_mov_b32 s25, 0x3f6eb680
	v_mov_b32_e32 v193, v185
	v_pk_mul_f32 v[196:197], v[66:67], s[70:71]
	v_pk_add_f32 v[192:193], v[192:193], v[188:189]
	v_pk_fma_f32 v[198:199], v[90:91], s[24:25], v[196:197] neg_lo:[1,0,0] neg_hi:[1,0,0]
	v_pk_fma_f32 v[188:189], v[90:91], s[24:25], v[196:197]
	v_pk_mul_f32 v[212:213], v[32:33], s[74:75]
	v_mov_b32_e32 v199, v189
	v_pk_add_f32 v[202:203], v[198:199], v[192:193]
	v_pk_mul_f32 v[198:199], v[64:65], s[74:75]
	v_pk_fma_f32 v[206:207], v[38:39], s[92:93], v[128:129] neg_lo:[1,0,0] neg_hi:[1,0,0]
	v_pk_fma_f32 v[204:205], v[96:97], s[26:27], v[198:199] neg_lo:[1,0,0] neg_hi:[1,0,0]
	v_pk_fma_f32 v[192:193], v[96:97], s[26:27], v[198:199]
	v_pk_mul_f32 v[216:217], v[74:75], s[70:71]
	v_mov_b32_e32 v205, v193
	v_pk_add_f32 v[202:203], v[204:205], v[202:203]
	ds_write2_b64 v235, v[200:201], v[202:203] offset0:4 offset1:5
	v_pk_fma_f32 v[204:205], v[80:81], s[26:27], v[212:213] neg_lo:[1,0,0] neg_hi:[1,0,0]
	v_pk_fma_f32 v[200:201], v[80:81], s[26:27], v[212:213]
	v_pk_fma_f32 v[202:203], v[38:39], s[92:93], v[128:129]
	v_mov_b32_e32 v205, v201
	v_mov_b32_e32 v207, v203
	v_pk_add_f32 v[204:205], v[58:59], v[204:205]
	v_pk_fma_f32 v[208:209], v[44:45], s[24:25], v[216:217] neg_lo:[1,0,0] neg_hi:[1,0,0]
	v_pk_add_f32 v[206:207], v[206:207], v[204:205]
	v_pk_fma_f32 v[204:205], v[44:45], s[24:25], v[216:217]
	v_pk_mul_f32 v[220:221], v[72:73], s[76:77]
	v_mov_b32_e32 v209, v205
	v_pk_add_f32 v[208:209], v[208:209], v[206:207]
	v_pk_fma_f32 v[210:211], v[50:51], s[98:99], v[220:221] neg_lo:[1,0,0] neg_hi:[1,0,0]
	v_pk_fma_f32 v[206:207], v[50:51], s[98:99], v[220:221]
	v_pk_mul_f32 v[222:223], v[70:71], s[2:3]
	v_mov_b32_e32 v211, v207
	v_pk_add_f32 v[210:211], v[210:211], v[208:209]
	v_pk_fma_f32 v[214:215], v[56:57], s[34:35], v[222:223] neg_lo:[1,0,0] neg_hi:[1,0,0]
	v_pk_fma_f32 v[208:209], v[56:57], s[34:35], v[222:223]
	v_pk_fma_f32 v[218:219], v[62:63], s[54:55], v[142:143] neg_lo:[1,0,0] neg_hi:[1,0,0]
	v_mov_b32_e32 v215, v209
	v_pk_add_f32 v[214:215], v[214:215], v[210:211]
	v_pk_fma_f32 v[210:211], v[62:63], s[54:55], v[142:143]
	v_pk_mul_f32 v[224:225], v[66:67], s[78:79]
	v_mov_b32_e32 v219, v211
	v_pk_add_f32 v[218:219], v[218:219], v[214:215]
	v_pk_fma_f32 v[226:227], v[90:91], s[84:85], v[224:225] neg_lo:[1,0,0] neg_hi:[1,0,0]
	v_pk_fma_f32 v[214:215], v[90:91], s[84:85], v[224:225]
	v_pk_mul_f32 v[244:245], v[78:79], s[80:81]
	v_mov_b32_e32 v227, v215
	v_pk_add_f32 v[236:237], v[226:227], v[218:219]
	v_pk_mul_f32 v[226:227], v[64:65], s[80:81]
	v_pk_fma_f32 v[246:247], v[38:39], s[86:87], v[244:245] neg_lo:[1,0,0] neg_hi:[1,0,0]
	v_pk_fma_f32 v[238:239], v[96:97], s[86:87], v[226:227] neg_lo:[1,0,0] neg_hi:[1,0,0]
	v_pk_fma_f32 v[218:219], v[96:97], s[86:87], v[226:227]
	v_pk_fma_f32 v[248:249], v[38:39], s[86:87], v[244:245]
	v_mov_b32_e32 v239, v219
	v_pk_add_f32 v[236:237], v[238:239], v[236:237]
	v_pk_mul_f32 v[238:239], v[32:33], s[76:77]
	v_mov_b32_e32 v247, v249
	v_pk_fma_f32 v[240:241], v[80:81], s[98:99], v[238:239] neg_lo:[1,0,0] neg_hi:[1,0,0]
	v_pk_fma_f32 v[242:243], v[80:81], s[98:99], v[238:239]
	v_accvgpr_write_b32 a25, v1
	v_mov_b32_e32 v241, v243
	v_pk_add_f32 v[240:241], v[58:59], v[240:241]
	v_accvgpr_write_b32 a24, v0
	v_pk_add_f32 v[240:241], v[246:247], v[240:241]
	v_pk_mul_f32 v[246:247], v[74:75], s[72:73]
	v_pk_mul_f32 v[30:31], v[66:67], s[82:83]
	v_pk_fma_f32 v[250:251], v[44:45], s[30:31], v[246:247] neg_lo:[1,0,0] neg_hi:[1,0,0]
	v_pk_fma_f32 v[252:253], v[44:45], s[30:31], v[246:247]
	s_mov_b32 s28, 0xbf763a35
	v_mov_b32_e32 v251, v253
	v_pk_add_f32 v[240:241], v[250:251], v[240:241]
	v_pk_mul_f32 v[250:251], v[72:73], s[0:1]
	v_pk_fma_f32 v[18:19], v[90:91], s[96:97], v[30:31]
	v_pk_fma_f32 v[228:229], v[50:51], s[6:7], v[250:251] neg_lo:[1,0,0] neg_hi:[1,0,0]
	v_pk_fma_f32 v[24:25], v[50:51], s[6:7], v[250:251]
	v_accvgpr_write_b32 a23, v17
	v_mov_b32_e32 v229, v25
	v_pk_add_f32 v[228:229], v[228:229], v[240:241]
	v_pk_mul_f32 v[240:241], v[70:71], s[70:71]
	s_mov_b32 s29, 0xbe8c1d8e
	v_pk_fma_f32 v[0:1], v[56:57], s[24:25], v[240:241] neg_lo:[1,0,0] neg_hi:[1,0,0]
	v_pk_fma_f32 v[22:23], v[56:57], s[24:25], v[240:241]
	v_pk_mul_f32 v[28:29], v[64:65], s[68:69]
	v_mov_b32_e32 v1, v23
	v_pk_add_f32 v[2:3], v[0:1], v[228:229]
	v_pk_mul_f32 v[228:229], v[68:69], s[78:79]
	v_accvgpr_write_b32 a22, v16
	v_pk_fma_f32 v[0:1], v[62:63], s[84:85], v[228:229] neg_lo:[1,0,0] neg_hi:[1,0,0]
	v_pk_fma_f32 v[20:21], v[62:63], s[84:85], v[228:229]
	v_pk_fma_f32 v[16:17], v[96:97], s[28:29], v[28:29]
	v_mov_b32_e32 v1, v21
	v_pk_add_f32 v[2:3], v[0:1], v[2:3]
	v_pk_fma_f32 v[0:1], v[90:91], s[96:97], v[30:31] neg_lo:[1,0,0] neg_hi:[1,0,0]
	v_pk_mul_f32 v[26:27], v[32:33], s[78:79]
	v_mov_b32_e32 v1, v19
	v_pk_add_f32 v[2:3], v[0:1], v[2:3]
	v_pk_fma_f32 v[0:1], v[96:97], s[28:29], v[28:29] neg_lo:[1,0,0] neg_hi:[1,0,0]
	v_pk_fma_f32 v[32:33], v[80:81], s[84:85], v[26:27]
	v_mov_b32_e32 v1, v17
	v_pk_add_f32 v[0:1], v[0:1], v[2:3]
	v_pk_fma_f32 v[2:3], v[80:81], s[84:85], v[26:27] neg_lo:[1,0,0] neg_hi:[1,0,0]
	v_pk_mul_f32 v[78:79], v[78:79], s[4:5]
	ds_write2_b64 v235, v[236:237], v[0:1] offset0:6 offset1:7
	v_mov_b32_e32 v3, v33
	v_pk_fma_f32 v[236:237], v[38:39], s[94:95], v[78:79] neg_lo:[1,0,0] neg_hi:[1,0,0]
	v_pk_fma_f32 v[12:13], v[38:39], s[94:95], v[78:79]
	v_pk_add_f32 v[2:3], v[58:59], v[2:3]
	v_mov_b32_e32 v237, v13
	v_pk_mul_f32 v[74:75], v[74:75], s[76:77]
	v_pk_add_f32 v[0:1], v[236:237], v[2:3]
	v_pk_fma_f32 v[236:237], v[44:45], s[98:99], v[74:75] neg_lo:[1,0,0] neg_hi:[1,0,0]
	v_pk_fma_f32 v[10:11], v[44:45], s[98:99], v[74:75]
	v_pk_mul_f32 v[72:73], v[72:73], s[82:83]
	v_mov_b32_e32 v237, v11
	v_pk_add_f32 v[0:1], v[236:237], v[0:1]
	v_pk_fma_f32 v[236:237], v[50:51], s[96:97], v[72:73] neg_lo:[1,0,0] neg_hi:[1,0,0]
	v_pk_fma_f32 v[8:9], v[50:51], s[96:97], v[72:73]
	v_pk_mul_f32 v[70:71], v[70:71], s[74:75]
	v_mov_b32_e32 v237, v9
	v_pk_fma_f32 v[26:27], v[80:81], s[84:85], v[26:27] neg_lo:[0,0,1] neg_hi:[0,0,1]
	v_pk_add_f32 v[0:1], v[236:237], v[0:1]
	v_pk_fma_f32 v[236:237], v[56:57], s[26:27], v[70:71] neg_lo:[1,0,0] neg_hi:[1,0,0]
	v_pk_fma_f32 v[6:7], v[56:57], s[26:27], v[70:71]
	v_mov_b32_e32 v33, v27
	v_pk_fma_f32 v[26:27], v[38:39], s[94:95], v[78:79] neg_lo:[0,0,1] neg_hi:[0,0,1]
	v_mov_b32_e32 v237, v7
	v_pk_mul_f32 v[68:69], v[68:69], s[80:81]
	v_mov_b32_e32 v13, v27
	v_pk_fma_f32 v[26:27], v[44:45], s[98:99], v[74:75] neg_lo:[0,0,1] neg_hi:[0,0,1]
	v_pk_add_f32 v[0:1], v[236:237], v[0:1]
	v_pk_fma_f32 v[236:237], v[62:63], s[86:87], v[68:69] neg_lo:[1,0,0] neg_hi:[1,0,0]
	v_pk_fma_f32 v[4:5], v[62:63], s[86:87], v[68:69]
	v_mov_b32_e32 v11, v27
	v_pk_fma_f32 v[26:27], v[50:51], s[96:97], v[72:73] neg_lo:[0,0,1] neg_hi:[0,0,1]
	v_mov_b32_e32 v237, v5
	;; [unrolled: 9-line block ×4, first 2 shown]
	v_mov_b32_e32 v1, v27
	v_pk_add_f32 v[26:27], v[58:59], v[32:33]
	v_pk_add_f32 v[14:15], v[236:237], v[14:15]
	;; [unrolled: 1-line block ×3, first 2 shown]
	s_mov_b64 s[0:1], s[6:7]
	v_pk_add_f32 v[10:11], v[10:11], v[12:13]
	v_writelane_b32 v255, s0, 20
	v_pk_add_f32 v[8:9], v[8:9], v[10:11]
	s_mov_b64 s[6:7], s[56:57]
	v_pk_add_f32 v[6:7], v[6:7], v[8:9]
	v_writelane_b32 v255, s1, 21
	v_pk_add_f32 v[4:5], v[4:5], v[6:7]
	s_nop 0
	v_pk_add_f32 v[2:3], v[2:3], v[4:5]
	s_nop 0
	v_pk_add_f32 v[0:1], v[0:1], v[2:3]
	ds_write2_b64 v235, v[14:15], v[0:1] offset0:8 offset1:9
	v_pk_fma_f32 v[0:1], v[80:81], s[98:99], v[238:239] neg_lo:[0,0,1] neg_hi:[0,0,1]
	v_pk_fma_f32 v[2:3], v[80:81], s[26:27], v[212:213] neg_lo:[0,0,1] neg_hi:[0,0,1]
	v_mov_b32_e32 v243, v1
	v_pk_fma_f32 v[0:1], v[38:39], s[86:87], v[244:245] neg_lo:[0,0,1] neg_hi:[0,0,1]
	v_mov_b32_e32 v201, v3
	;; [unrolled: 2-line block ×15, first 2 shown]
	v_pk_add_f32 v[0:1], v[58:59], v[242:243]
	v_mov_b32_e32 v219, v3
	v_pk_add_f32 v[2:3], v[58:59], v[200:201]
	v_pk_add_f32 v[0:1], v[248:249], v[0:1]
	;; [unrolled: 1-line block ×15, first 2 shown]
	ds_write2_b64 v235, v[0:1], v[2:3] offset0:10 offset1:11
	v_pk_fma_f32 v[0:1], v[80:81], s[28:29], v[182:183] neg_lo:[0,0,1] neg_hi:[0,0,1]
	v_pk_fma_f32 v[2:3], v[80:81], s[30:31], v[150:151] neg_lo:[0,0,1] neg_hi:[0,0,1]
	v_mov_b32_e32 v173, v1
	v_pk_fma_f32 v[0:1], v[38:39], s[6:7], v[122:123] neg_lo:[0,0,1] neg_hi:[0,0,1]
	v_mov_b32_e32 v145, v3
	;; [unrolled: 2-line block ×15, first 2 shown]
	v_pk_add_f32 v[0:1], v[58:59], v[172:173]
	v_mov_b32_e32 v167, v3
	v_pk_add_f32 v[2:3], v[58:59], v[144:145]
	v_pk_add_f32 v[0:1], v[174:175], v[0:1]
	;; [unrolled: 1-line block ×15, first 2 shown]
	ds_write2_b64 v235, v[0:1], v[2:3] offset0:12 offset1:13
	v_accvgpr_read_b32 v0, a20
	v_accvgpr_read_b32 v1, a21
	v_pk_fma_f32 v[0:1], v[80:81], s[52:53], v[0:1] neg_lo:[0,0,1] neg_hi:[0,0,1]
	v_pk_fma_f32 v[2:3], v[80:81], s[54:55], v[114:115] neg_lo:[0,0,1] neg_hi:[0,0,1]
	v_mov_b32_e32 v47, v1
	v_pk_fma_f32 v[0:1], v[38:39], s[26:27], v[104:105] neg_lo:[0,0,1] neg_hi:[0,0,1]
	v_mov_b32_e32 v109, v3
	;; [unrolled: 2-line block ×3, first 2 shown]
	v_readlane_b32 s0, v255, 18
	v_accvgpr_read_b32 v0, a22
	v_mov_b32_e32 v111, v3
	v_pk_fma_f32 v[2:3], v[44:45], s[26:27], v[118:119] neg_lo:[0,0,1] neg_hi:[0,0,1]
	v_readlane_b32 s1, v255, 19
	v_accvgpr_read_b32 v1, a23
	v_mov_b32_e32 v83, v3
	v_pk_fma_f32 v[2:3], v[50:51], s[84:85], v[120:121] neg_lo:[0,0,1] neg_hi:[0,0,1]
	v_pk_fma_f32 v[0:1], v[44:45], s[0:1], v[0:1] neg_lo:[0,0,1] neg_hi:[0,0,1]
	v_mov_b32_e32 v77, v3
	v_accvgpr_read_b32 v2, a16
	v_mov_b32_e32 v41, v1
	v_accvgpr_read_b32 v0, a24
	v_accvgpr_read_b32 v3, a17
	;; [unrolled: 1-line block ×3, first 2 shown]
	v_pk_fma_f32 v[2:3], v[56:57], s[6:7], v[2:3] neg_lo:[0,0,1] neg_hi:[0,0,1]
	v_pk_fma_f32 v[0:1], v[50:51], s[92:93], v[0:1] neg_lo:[0,0,1] neg_hi:[0,0,1]
	v_mov_b32_e32 v61, v3
	v_accvgpr_read_b32 v2, a18
	v_mov_b32_e32 v37, v1
	v_pk_fma_f32 v[0:1], v[56:57], s[96:97], v[130:131] neg_lo:[0,0,1] neg_hi:[0,0,1]
	v_accvgpr_read_b32 v3, a19
	v_mov_b32_e32 v35, v1
	v_pk_fma_f32 v[0:1], v[62:63], s[24:25], v[132:133] neg_lo:[0,0,1] neg_hi:[0,0,1]
	v_pk_fma_f32 v[2:3], v[62:63], s[92:93], v[2:3] neg_lo:[0,0,1] neg_hi:[0,0,1]
	v_mov_b32_e32 v127, v1
	v_pk_fma_f32 v[0:1], v[90:91], s[30:31], v[136:137] neg_lo:[0,0,1] neg_hi:[0,0,1]
	v_mov_b32_e32 v55, v3
	;; [unrolled: 2-line block ×5, first 2 shown]
	v_pk_add_f32 v[0:1], v[58:59], v[46:47]
	v_mov_b32_e32 v49, v3
	v_pk_add_f32 v[2:3], v[58:59], v[108:109]
	v_pk_add_f32 v[0:1], v[42:43], v[0:1]
	;; [unrolled: 1-line block ×15, first 2 shown]
	ds_write2_b64 v235, v[0:1], v[2:3] offset0:14 offset1:15
	v_accvgpr_read_b32 v2, a2
	v_accvgpr_read_b32 v3, a3
	v_pk_fma_f32 v[2:3], v[38:39], s[54:55], v[2:3] neg_lo:[0,0,1] neg_hi:[0,0,1]
	v_accvgpr_read_b32 v0, a0
	v_mov_b32_e32 v101, v3
	v_accvgpr_read_b32 v2, a4
	v_accvgpr_read_b32 v3, a5
	v_pk_fma_f32 v[2:3], v[44:45], s[52:53], v[2:3] neg_lo:[0,0,1] neg_hi:[0,0,1]
	v_accvgpr_read_b32 v1, a1
	v_mov_b32_e32 v95, v3
	v_accvgpr_read_b32 v2, a6
	v_accvgpr_read_b32 v3, a7
	v_pk_fma_f32 v[2:3], v[50:51], s[30:31], v[2:3] neg_lo:[0,0,1] neg_hi:[0,0,1]
	v_pk_fma_f32 v[0:1], v[80:81], s[24:25], v[0:1] neg_lo:[0,0,1] neg_hi:[0,0,1]
	v_mov_b32_e32 v89, v3
	v_accvgpr_read_b32 v2, a8
	v_accvgpr_read_b32 v3, a9
	v_pk_fma_f32 v[2:3], v[56:57], s[28:29], v[2:3] neg_lo:[0,0,1] neg_hi:[0,0,1]
	v_mov_b32_e32 v103, v1
	v_mov_b32_e32 v85, v3
	v_accvgpr_read_b32 v2, a10
	v_accvgpr_read_b32 v3, a11
	v_pk_fma_f32 v[2:3], v[62:63], s[26:27], v[2:3] neg_lo:[0,0,1] neg_hi:[0,0,1]
	v_pk_add_f32 v[0:1], v[58:59], v[102:103]
	v_mov_b32_e32 v87, v3
	v_accvgpr_read_b32 v2, a12
	v_pk_add_f32 v[0:1], v[100:101], v[0:1]
	v_accvgpr_read_b32 v3, a13
	v_pk_add_f32 v[0:1], v[94:95], v[0:1]
	v_pk_fma_f32 v[2:3], v[90:91], s[98:99], v[2:3] neg_lo:[0,0,1] neg_hi:[0,0,1]
	v_pk_add_f32 v[0:1], v[88:89], v[0:1]
	v_mov_b32_e32 v93, v3
	v_accvgpr_read_b32 v2, a14
	v_pk_add_f32 v[0:1], v[84:85], v[0:1]
	v_accvgpr_read_b32 v3, a15
	v_pk_add_f32 v[0:1], v[86:87], v[0:1]
	v_pk_fma_f32 v[2:3], v[96:97], s[84:85], v[2:3] neg_lo:[0,0,1] neg_hi:[0,0,1]
	v_pk_add_f32 v[0:1], v[92:93], v[0:1]
	v_mov_b32_e32 v99, v3
	v_pk_add_f32 v[0:1], v[98:99], v[0:1]
	ds_write_b64 v235, v[0:1] offset:128
	s_waitcnt lgkmcnt(0)
	s_barrier
	ds_read2_b64 v[0:3], v235 offset0:6 offset1:7
	ds_read2_b64 v[4:7], v235 offset0:4 offset1:5
	;; [unrolled: 1-line block ×4, first 2 shown]
	ds_read_b64 v[24:25], v235 offset:128
	s_load_dwordx4 s[0:3], vcc, 0x100
	s_load_dwordx16 s[68:83], vcc, 0xc0
	ds_read2_b64 v[12:15], v235 offset0:10 offset1:11
	ds_read2_b64 v[16:19], v235 offset0:12 offset1:13
	v_readlane_b32 s52, v255, 2
	s_waitcnt lgkmcnt(0)
	v_pk_mul_f32 v[46:47], v[22:23], s[0:1] op_sel_hi:[1,0]
	v_pk_mul_f32 v[48:49], v[22:23], s[0:1] op_sel:[0,1]
	v_mul_f32_e32 v22, s3, v25
	v_mul_f32_e32 v51, s3, v24
	v_fma_f32 v50, v24, s2, -v22
	v_fmac_f32_e32 v51, s2, v25
	ds_read2_b64 v[22:25], v235 offset1:1
	ds_read2_b64 v[26:29], v235 offset0:2 offset1:3
	v_readlane_b32 s57, v255, 7
	v_readlane_b32 s55, v255, 5
	s_mov_b32 s0, s57
	v_readlane_b32 s54, v255, 4
	v_readlane_b32 s56, v255, 6
	s_waitcnt lgkmcnt(1)
	v_pk_mul_f32 v[52:53], v[24:25], s[0:1] op_sel_hi:[1,0]
	s_mov_b32 s0, s55
	v_pk_mul_f32 v[54:55], v[22:23], s[0:1] op_sel_hi:[1,0]
	v_pk_mul_f32 v[24:25], v[24:25], s[56:57] op_sel_hi:[1,0]
	;; [unrolled: 1-line block ×3, first 2 shown]
	v_readlane_b32 s61, v255, 11
	v_sub_f32_e32 v22, v22, v55
	v_sub_f32_e32 v66, v24, v53
	v_mov_b32_e32 v55, v52
	v_mov_b32_e32 v24, v23
	v_readlane_b32 s59, v255, 9
	s_mov_b32 s0, s61
	v_pk_add_f32 v[24:25], v[24:25], v[54:55]
	v_readlane_b32 s58, v255, 8
	v_readlane_b32 s60, v255, 10
	;; [unrolled: 1-line block ×3, first 2 shown]
	s_waitcnt lgkmcnt(0)
	v_pk_mul_f32 v[56:57], v[28:29], s[0:1] op_sel_hi:[1,0]
	s_mov_b32 s0, s59
	v_mov_b32_e32 v23, v24
	v_mov_b32_e32 v67, v25
	v_readlane_b32 s63, v255, 13
	v_pk_mul_f32 v[58:59], v[26:27], s[0:1] op_sel_hi:[1,0]
	s_mov_b32 s0, s65
	ds_write2_b64 v235, v[22:23], v[66:67] offset1:1
	v_pk_mul_f32 v[22:23], v[28:29], s[60:61] op_sel_hi:[1,0]
	v_pk_mul_f32 v[24:25], v[26:27], s[58:59] op_sel_hi:[1,0]
	v_readlane_b32 s62, v255, 12
	v_readlane_b32 s64, v255, 14
	v_pk_mul_f32 v[60:61], v[6:7], s[0:1] op_sel_hi:[1,0]
	s_mov_b32 s0, s63
	v_sub_f32_e32 v24, v24, v59
	v_sub_f32_e32 v26, v22, v57
	v_mov_b32_e32 v59, v56
	v_mov_b32_e32 v22, v25
	v_pk_mul_f32 v[62:63], v[4:5], s[0:1] op_sel_hi:[1,0]
	v_pk_add_f32 v[22:23], v[22:23], v[58:59]
	v_pk_mul_f32 v[6:7], v[6:7], s[64:65] op_sel_hi:[1,0]
	v_pk_mul_f32 v[4:5], v[4:5], s[62:63] op_sel_hi:[1,0]
	v_readlane_b32 s67, v255, 17
	v_mov_b32_e32 v25, v22
	v_sub_f32_e32 v4, v4, v63
	v_sub_f32_e32 v22, v6, v61
	v_mov_b32_e32 v63, v60
	v_mov_b32_e32 v6, v5
	v_readlane_b32 s66, v255, 16
	s_mov_b32 s0, s67
	v_pk_add_f32 v[6:7], v[6:7], v[62:63]
	v_pk_mul_f32 v[30:31], v[2:3], s[68:69] op_sel_hi:[1,0]
	v_pk_mul_f32 v[2:3], v[2:3], s[68:69] op_sel:[0,1]
	v_pk_mul_f32 v[64:65], v[0:1], s[0:1] op_sel_hi:[1,0]
	v_mov_b32_e32 v27, v23
	v_mov_b32_e32 v5, v6
	v_mov_b32_e32 v23, v7
	v_pk_mul_f32 v[0:1], v[0:1], s[66:67] op_sel_hi:[1,0]
	ds_write2_b64 v235, v[4:5], v[22:23] offset0:4 offset1:5
	v_sub_f32_e32 v0, v0, v65
	v_sub_f32_e32 v4, v30, v3
	v_mov_b32_e32 v65, v2
	v_mov_b32_e32 v30, v1
	s_mov_b32 s4, s71
	s_mov_b32 s68, s73
	v_pk_add_f32 v[2:3], v[30:31], v[64:65]
	v_pk_mul_f32 v[32:33], v[8:9], s[70:71] op_sel_hi:[1,0]
	v_pk_mul_f32 v[34:35], v[10:11], s[72:73] op_sel_hi:[1,0]
	v_pk_mul_f32 v[8:9], v[8:9], s[4:5] op_sel_hi:[1,0]
	v_pk_mul_f32 v[10:11], v[10:11], s[68:69] op_sel_hi:[1,0]
	v_mov_b32_e32 v1, v2
	v_mov_b32_e32 v5, v3
	ds_write2_b64 v235, v[0:1], v[4:5] offset0:6 offset1:7
	v_sub_f32_e32 v0, v34, v11
	v_sub_f32_e32 v2, v32, v9
	v_mov_b32_e32 v9, v10
	v_mov_b32_e32 v34, v33
	s_mov_b32 s70, s75
	s_mov_b32 s72, s77
	v_pk_add_f32 v[4:5], v[34:35], v[8:9]
	v_pk_mul_f32 v[36:37], v[12:13], s[74:75] op_sel_hi:[1,0]
	v_pk_mul_f32 v[38:39], v[14:15], s[76:77] op_sel_hi:[1,0]
	v_pk_mul_f32 v[12:13], v[12:13], s[70:71] op_sel_hi:[1,0]
	v_pk_mul_f32 v[14:15], v[14:15], s[72:73] op_sel_hi:[1,0]
	v_mov_b32_e32 v3, v4
	v_mov_b32_e32 v1, v5
	;; [unrolled: 14-line block ×3, first 2 shown]
	ds_write2_b64 v235, v[2:3], v[0:1] offset0:10 offset1:11
	v_sub_f32_e32 v0, v42, v19
	v_sub_f32_e32 v2, v40, v17
	v_mov_b32_e32 v17, v18
	v_mov_b32_e32 v42, v41
	v_pk_add_f32 v[4:5], v[42:43], v[16:17]
	s_mov_b32 s78, s83
	v_mov_b32_e32 v3, v4
	v_mov_b32_e32 v1, v5
	v_pk_mul_f32 v[44:45], v[20:21], s[82:83] op_sel_hi:[1,0]
	ds_write2_b64 v235, v[2:3], v[0:1] offset0:12 offset1:13
	v_pk_mul_f32 v[0:1], v[20:21], s[78:79] op_sel_hi:[1,0]
	v_sub_f32_e32 v2, v46, v49
	v_sub_f32_e32 v4, v44, v1
	v_mov_b32_e32 v1, v48
	v_mov_b32_e32 v46, v45
	v_pk_add_f32 v[0:1], v[46:47], v[0:1]
	ds_write2_b64 v235, v[24:25], v[26:27] offset0:2 offset1:3
	v_mov_b32_e32 v5, v0
	v_mov_b32_e32 v3, v1
	ds_write2_b64 v235, v[4:5], v[2:3] offset0:14 offset1:15
	ds_write_b64 v235, v[50:51] offset:128
	s_waitcnt lgkmcnt(0)
	s_barrier
	ds_read2_b64 v[4:7], v235 offset0:8 offset1:9
	ds_read2_b64 v[8:11], v235 offset0:10 offset1:11
	;; [unrolled: 1-line block ×4, first 2 shown]
	ds_read2_b64 v[0:3], v235 offset1:1
	ds_read_b64 v[64:65], v235 offset:128
	ds_read2_b64 v[28:31], v235 offset0:2 offset1:3
	ds_read2_b64 v[20:23], v235 offset0:6 offset1:7
	;; [unrolled: 1-line block ×3, first 2 shown]
	s_waitcnt lgkmcnt(4)
	v_pk_add_f32 v[76:77], v[0:1], v[2:3]
	s_mov_b32 s0, 0xbeb8f4ab
	s_waitcnt lgkmcnt(3)
	v_pk_add_f32 v[38:39], v[2:3], v[64:65] neg_lo:[0,1] neg_hi:[0,1]
	s_mov_b32 s1, 0x3f6eb680
	s_waitcnt lgkmcnt(2)
	v_pk_add_f32 v[76:77], v[76:77], v[28:29]
	s_mov_b32 s54, s1
	v_pk_mul_f32 v[72:73], v[38:39], s[0:1] op_sel_hi:[1,0]
	v_pk_add_f32 v[46:47], v[30:31], v[16:17] neg_lo:[0,1] neg_hi:[0,1]
	v_readlane_b32 s0, v255, 18
	v_pk_add_f32 v[52:53], v[16:17], v[30:31]
	v_pk_add_f32 v[30:31], v[76:77], v[30:31]
	v_readlane_b32 s1, v255, 19
	s_waitcnt lgkmcnt(0)
	v_pk_add_f32 v[30:31], v[30:31], v[24:25]
	v_pk_add_f32 v[50:51], v[26:27], v[12:13] neg_lo:[0,1] neg_hi:[0,1]
	v_pk_mul_f32 v[84:85], v[46:47], s[0:1] op_sel_hi:[1,0]
	s_mov_b32 s0, 0xbf2c7751
	v_pk_add_f32 v[70:71], v[12:13], v[26:27]
	v_pk_add_f32 v[26:27], v[30:31], v[26:27]
	v_pk_add_f32 v[44:45], v[28:29], v[18:19] neg_lo:[0,1] neg_hi:[0,1]
	s_mov_b32 s1, 0x3f3d2fb0
	v_pk_add_f32 v[26:27], v[26:27], v[20:21]
	s_mov_b32 s2, s1
	v_pk_mul_f32 v[88:89], v[44:45], s[0:1] op_sel_hi:[1,0]
	s_mov_b32 s0, 0xbf65296c
	v_pk_add_f32 v[130:131], v[8:9], v[22:23]
	v_pk_add_f32 v[134:135], v[22:23], v[8:9] neg_lo:[0,1] neg_hi:[0,1]
	v_pk_add_f32 v[22:23], v[26:27], v[22:23]
	v_pk_add_f32 v[36:37], v[64:65], v[2:3]
	s_mov_b32 s1, 0x3ee437d1
	v_pk_add_f32 v[60:61], v[24:25], v[14:15] neg_lo:[0,1] neg_hi:[0,1]
	v_pk_add_f32 v[132:133], v[6:7], v[4:5]
	v_pk_add_f32 v[136:137], v[4:5], v[6:7] neg_lo:[0,1] neg_hi:[0,1]
	v_pk_add_f32 v[4:5], v[22:23], v[4:5]
	v_pk_fma_f32 v[74:75], v[36:37], s[54:55], v[72:73] op_sel:[0,0,1] op_sel_hi:[1,0,0]
	v_pk_add_f32 v[40:41], v[18:19], v[28:29]
	s_mov_b32 s56, s1
	v_pk_mul_f32 v[92:93], v[46:47], s[0:1] op_sel_hi:[1,0]
	v_pk_add_f32 v[58:59], v[14:15], v[24:25]
	v_pk_mul_f32 v[110:111], v[38:39], s[0:1] op_sel_hi:[1,0]
	v_pk_mul_f32 v[126:127], v[50:51], s[0:1] op_sel_hi:[1,0]
	;; [unrolled: 1-line block ×3, first 2 shown]
	s_mov_b32 s0, 0xbf7ee86f
	v_pk_add_f32 v[4:5], v[4:5], v[6:7]
	v_pk_fma_f32 v[24:25], v[36:37], s[54:55], v[72:73] op_sel:[0,0,1] op_sel_hi:[1,0,0] neg_lo:[0,0,1] neg_hi:[0,0,1]
	v_accvgpr_write_b32 a1, v75
	v_pk_fma_f32 v[90:91], v[40:41], s[2:3], v[88:89] op_sel:[0,0,1] op_sel_hi:[1,0,0]
	s_mov_b32 s1, 0x3dbcf732
	v_pk_add_f32 v[4:5], v[4:5], v[8:9]
	v_mov_b32_e32 v75, v25
	v_pk_fma_f32 v[34:35], v[40:41], s[2:3], v[88:89] op_sel:[0,0,1] op_sel_hi:[1,0,0] neg_lo:[0,0,1] neg_hi:[0,0,1]
	v_accvgpr_write_b32 a3, v91
	v_pk_fma_f32 v[96:97], v[52:53], s[56:57], v[92:93] op_sel:[0,0,1] op_sel_hi:[1,0,0]
	s_mov_b32 s58, s1
	v_pk_mul_f32 v[98:99], v[60:61], s[0:1] op_sel_hi:[1,0]
	v_pk_add_f32 v[68:69], v[20:21], v[10:11] neg_lo:[0,1] neg_hi:[0,1]
	s_mov_b32 s0, 0xbf763a35
	v_pk_add_f32 v[128:129], v[10:11], v[20:21]
	v_pk_add_f32 v[4:5], v[4:5], v[10:11]
	;; [unrolled: 1-line block ×3, first 2 shown]
	v_mov_b32_e32 v91, v35
	v_pk_fma_f32 v[22:23], v[52:53], s[56:57], v[92:93] op_sel:[0,0,1] op_sel_hi:[1,0,0] neg_lo:[0,0,1] neg_hi:[0,0,1]
	v_accvgpr_write_b32 a5, v97
	v_pk_fma_f32 v[100:101], v[58:59], s[58:59], v[98:99] op_sel:[0,0,1] op_sel_hi:[1,0,0]
	s_mov_b32 s1, 0xbe8c1d8e
	v_pk_add_f32 v[4:5], v[4:5], v[12:13]
	v_pk_add_f32 v[12:13], v[90:91], v[10:11]
	v_mov_b32_e32 v97, v23
	v_pk_fma_f32 v[20:21], v[58:59], s[58:59], v[98:99] op_sel:[0,0,1] op_sel_hi:[1,0,0] neg_lo:[0,0,1] neg_hi:[0,0,1]
	v_accvgpr_write_b32 a7, v101
	s_mov_b32 s60, s1
	v_pk_mul_f32 v[32:33], v[50:51], s[0:1] op_sel_hi:[1,0]
	s_mov_b32 s28, 0xbf4c4adb
	v_pk_add_f32 v[4:5], v[4:5], v[14:15]
	v_pk_add_f32 v[14:15], v[96:97], v[12:13]
	v_mov_b32_e32 v101, v21
	v_pk_fma_f32 v[104:105], v[70:71], s[60:61], v[32:33] op_sel:[0,0,1] op_sel_hi:[1,0,0]
	s_mov_b32 s29, 0xbf1a4643
	v_pk_add_f32 v[4:5], v[4:5], v[16:17]
	v_pk_add_f32 v[16:17], v[100:101], v[14:15]
	v_pk_fma_f32 v[14:15], v[70:71], s[60:61], v[32:33] op_sel:[0,0,1] op_sel_hi:[1,0,0] neg_lo:[0,0,1] neg_hi:[0,0,1]
	v_accvgpr_write_b32 a9, v105
	v_pk_mul_f32 v[114:115], v[68:69], s[28:29] op_sel_hi:[1,0]
	s_mov_b32 s62, s29
	s_mov_b32 s30, 0xbf06c442
	v_mov_b32_e32 v105, v15
	v_pk_fma_f32 v[116:117], v[128:129], s[62:63], v[114:115] op_sel:[0,0,1] op_sel_hi:[1,0,0]
	s_mov_b32 s31, 0xbf59a7d5
	v_pk_add_f32 v[4:5], v[4:5], v[18:19]
	v_pk_add_f32 v[18:19], v[104:105], v[16:17]
	v_pk_fma_f32 v[16:17], v[128:129], s[62:63], v[114:115] op_sel:[0,0,1] op_sel_hi:[1,0,0] neg_lo:[0,0,1] neg_hi:[0,0,1]
	v_accvgpr_write_b32 a11, v117
	v_pk_mul_f32 v[118:119], v[134:135], s[30:31] op_sel_hi:[1,0]
	s_mov_b32 s64, s31
	v_mov_b32_e32 v117, v17
	v_pk_fma_f32 v[62:63], v[130:131], s[64:65], v[118:119] op_sel:[0,0,1] op_sel_hi:[1,0,0]
	v_pk_add_f32 v[26:27], v[116:117], v[18:19]
	v_pk_fma_f32 v[18:19], v[130:131], s[64:65], v[118:119] op_sel:[0,0,1] op_sel_hi:[1,0,0] neg_lo:[0,0,1] neg_hi:[0,0,1]
	v_mov_b32_e32 v120, v62
	v_pk_mul_f32 v[122:123], v[136:137], s[84:85] op_sel_hi:[1,0]
	s_mov_b32 s66, s85
	v_mov_b32_e32 v121, v19
	s_mov_b32 s24, 0xbf2c7751
	v_pk_fma_f32 v[66:67], v[132:133], s[66:67], v[122:123] op_sel:[0,0,1] op_sel_hi:[1,0,0]
	v_pk_add_f32 v[72:73], v[120:121], v[26:27]
	v_pk_fma_f32 v[26:27], v[132:133], s[66:67], v[122:123] op_sel:[0,0,1] op_sel_hi:[1,0,0] neg_lo:[0,0,1] neg_hi:[0,0,1]
	s_mov_b32 s25, 0x3f3d2fb0
	s_mov_b32 s26, 0xbf7ee86f
	v_mov_b32_e32 v124, v66
	v_mov_b32_e32 v125, v27
	s_mov_b32 s27, 0x3dbcf732
	v_pk_mul_f32 v[138:139], v[38:39], s[24:25] op_sel_hi:[1,0]
	v_pk_add_f32 v[64:65], v[4:5], v[64:65]
	v_pk_add_f32 v[72:73], v[124:125], v[72:73]
	v_pk_fma_f32 v[78:79], v[36:37], s[2:3], v[138:139] op_sel:[0,0,1] op_sel_hi:[1,0,0]
	v_pk_mul_f32 v[142:143], v[44:45], s[26:27] op_sel_hi:[1,0]
	ds_write2_b64 v235, v[64:65], v[72:73] offset1:1
	v_pk_fma_f32 v[72:73], v[36:37], s[2:3], v[138:139] op_sel:[0,0,1] op_sel_hi:[1,0,0] neg_lo:[0,0,1] neg_hi:[0,0,1]
	v_mov_b32_e32 v140, v78
	v_pk_fma_f32 v[80:81], v[40:41], s[58:59], v[142:143] op_sel:[0,0,1] op_sel_hi:[1,0,0]
	v_mov_b32_e32 v141, v73
	v_pk_fma_f32 v[64:65], v[40:41], s[58:59], v[142:143] op_sel:[0,0,1] op_sel_hi:[1,0,0] neg_lo:[0,0,1] neg_hi:[0,0,1]
	v_mov_b32_e32 v144, v80
	v_pk_mul_f32 v[146:147], v[46:47], s[28:29] op_sel_hi:[1,0]
	v_pk_add_f32 v[74:75], v[0:1], v[140:141]
	v_mov_b32_e32 v145, v65
	v_pk_fma_f32 v[82:83], v[52:53], s[62:63], v[146:147] op_sel:[0,0,1] op_sel_hi:[1,0,0]
	v_pk_add_f32 v[76:77], v[144:145], v[74:75]
	v_pk_fma_f32 v[74:75], v[52:53], s[62:63], v[146:147] op_sel:[0,0,1] op_sel_hi:[1,0,0] neg_lo:[0,0,1] neg_hi:[0,0,1]
	v_mov_b32_e32 v150, v82
	v_pk_mul_f32 v[152:153], v[60:61], s[84:85] op_sel_hi:[1,0]
	v_mov_b32_e32 v151, v75
	v_pk_mul_f32 v[86:87], v[50:51], s[6:7] op_sel_hi:[1,0]
	v_pk_fma_f32 v[56:57], v[58:59], s[66:67], v[152:153] op_sel:[0,0,1] op_sel_hi:[1,0,0]
	v_pk_add_f32 v[88:89], v[150:151], v[76:77]
	v_pk_fma_f32 v[76:77], v[58:59], s[66:67], v[152:153] op_sel:[0,0,1] op_sel_hi:[1,0,0] neg_lo:[0,0,1] neg_hi:[0,0,1]
	v_mov_b32_e32 v154, v56
	v_pk_fma_f32 v[54:55], v[70:71], s[64:65], v[86:87] op_sel:[0,0,1] op_sel_hi:[1,0,0]
	v_mov_b32_e32 v155, v77
	v_pk_fma_f32 v[86:87], v[70:71], s[64:65], v[86:87] op_sel:[0,0,1] op_sel_hi:[1,0,0] neg_lo:[0,0,1] neg_hi:[0,0,1]
	v_pk_mul_f32 v[106:107], v[68:69], s[92:93] op_sel_hi:[1,0]
	v_mov_b32_e32 v156, v54
	v_pk_add_f32 v[88:89], v[154:155], v[88:89]
	v_mov_b32_e32 v157, v87
	v_pk_fma_f32 v[48:49], v[128:129], s[60:61], v[106:107] op_sel:[0,0,1] op_sel_hi:[1,0,0]
	v_pk_add_f32 v[90:91], v[156:157], v[88:89]
	v_pk_fma_f32 v[88:89], v[128:129], s[60:61], v[106:107] op_sel:[0,0,1] op_sel_hi:[1,0,0] neg_lo:[0,0,1] neg_hi:[0,0,1]
	v_mov_b32_e32 v158, v48
	v_pk_mul_f32 v[160:161], v[134:135], s[86:87] op_sel_hi:[1,0]
	v_mov_b32_e32 v159, v89
	v_pk_fma_f32 v[42:43], v[130:131], s[56:57], v[160:161] op_sel:[0,0,1] op_sel_hi:[1,0,0]
	v_pk_fma_f32 v[30:31], v[36:37], s[56:57], v[110:111] op_sel:[0,0,1] op_sel_hi:[1,0,0]
	v_pk_mul_f32 v[170:171], v[44:45], s[28:29] op_sel_hi:[1,0]
	v_pk_add_f32 v[92:93], v[158:159], v[90:91]
	v_pk_fma_f32 v[90:91], v[130:131], s[56:57], v[160:161] op_sel:[0,0,1] op_sel_hi:[1,0,0] neg_lo:[0,0,1] neg_hi:[0,0,1]
	v_pk_fma_f32 v[120:121], v[36:37], s[56:57], v[110:111] op_sel:[0,0,1] op_sel_hi:[1,0,0] neg_lo:[0,0,1] neg_hi:[0,0,1]
	v_mov_b32_e32 v162, v42
	v_pk_mul_f32 v[164:165], v[136:137], s[94:95] op_sel_hi:[1,0]
	v_mov_b32_e32 v168, v30
	v_pk_fma_f32 v[94:95], v[40:41], s[62:63], v[170:171] op_sel:[0,0,1] op_sel_hi:[1,0,0]
	v_mov_b32_e32 v163, v91
	v_mov_b32_e32 v169, v121
	v_pk_fma_f32 v[122:123], v[40:41], s[62:63], v[170:171] op_sel:[0,0,1] op_sel_hi:[1,0,0] neg_lo:[0,0,1] neg_hi:[0,0,1]
	s_mov_b32 s4, 0xbeb8f4ab
	v_pk_mul_f32 v[112:113], v[60:61], s[92:93] op_sel_hi:[1,0]
	v_pk_fma_f32 v[28:29], v[132:133], s[54:55], v[164:165] op_sel:[0,0,1] op_sel_hi:[1,0,0]
	v_mov_b32_e32 v172, v94
	v_pk_fma_f32 v[96:97], v[52:53], s[66:67], v[84:85] op_sel:[0,0,1] op_sel_hi:[1,0,0]
	v_pk_add_f32 v[118:119], v[162:163], v[92:93]
	v_pk_fma_f32 v[92:93], v[132:133], s[54:55], v[164:165] op_sel:[0,0,1] op_sel_hi:[1,0,0] neg_lo:[0,0,1] neg_hi:[0,0,1]
	v_pk_add_f32 v[110:111], v[0:1], v[168:169]
	v_mov_b32_e32 v173, v123
	v_pk_fma_f32 v[124:125], v[52:53], s[66:67], v[84:85] op_sel:[0,0,1] op_sel_hi:[1,0,0] neg_lo:[0,0,1] neg_hi:[0,0,1]
	s_mov_b32 s5, 0x3f6eb680
	v_mov_b32_e32 v166, v28
	v_mov_b32_e32 v32, v96
	v_pk_fma_f32 v[100:101], v[58:59], s[60:61], v[112:113] op_sel:[0,0,1] op_sel_hi:[1,0,0]
	v_pk_mul_f32 v[116:117], v[50:51], s[96:97] op_sel_hi:[1,0]
	v_mov_b32_e32 v167, v93
	v_pk_add_f32 v[110:111], v[172:173], v[110:111]
	v_mov_b32_e32 v33, v125
	v_pk_fma_f32 v[112:113], v[58:59], s[60:61], v[112:113] op_sel:[0,0,1] op_sel_hi:[1,0,0] neg_lo:[0,0,1] neg_hi:[0,0,1]
	v_mov_b32_e32 v114, v100
	v_pk_fma_f32 v[98:99], v[70:71], s[2:3], v[116:117] op_sel:[0,0,1] op_sel_hi:[1,0,0]
	v_pk_mul_f32 v[140:141], v[68:69], s[4:5] op_sel_hi:[1,0]
	v_pk_add_f32 v[150:151], v[166:167], v[118:119]
	v_pk_add_f32 v[32:33], v[32:33], v[110:111]
	v_mov_b32_e32 v115, v113
	v_pk_fma_f32 v[118:119], v[70:71], s[2:3], v[116:117] op_sel:[0,0,1] op_sel_hi:[1,0,0] neg_lo:[0,0,1] neg_hi:[0,0,1]
	v_mov_b32_e32 v138, v98
	v_pk_fma_f32 v[104:105], v[128:129], s[54:55], v[140:141] op_sel:[0,0,1] op_sel_hi:[1,0,0]
	v_pk_mul_f32 v[144:145], v[134:135], s[26:27] op_sel_hi:[1,0]
	v_pk_add_f32 v[32:33], v[114:115], v[32:33]
	v_mov_b32_e32 v139, v119
	v_pk_fma_f32 v[116:117], v[128:129], s[54:55], v[140:141] op_sel:[0,0,1] op_sel_hi:[1,0,0] neg_lo:[0,0,1] neg_hi:[0,0,1]
	v_mov_b32_e32 v142, v104
	v_pk_fma_f32 v[106:107], v[130:131], s[58:59], v[144:145] op_sel:[0,0,1] op_sel_hi:[1,0,0]
	v_pk_mul_f32 v[152:153], v[136:137], s[30:31] op_sel_hi:[1,0]
	;; [unrolled: 6-line block ×3, first 2 shown]
	v_pk_add_f32 v[32:33], v[142:143], v[32:33]
	v_mov_b32_e32 v147, v111
	v_pk_fma_f32 v[114:115], v[132:133], s[64:65], v[152:153] op_sel:[0,0,1] op_sel_hi:[1,0,0] neg_lo:[0,0,1] neg_hi:[0,0,1]
	v_mov_b32_e32 v154, v84
	v_pk_fma_f32 v[138:139], v[36:37], s[58:59], v[156:157] op_sel:[0,0,1] op_sel_hi:[1,0,0]
	v_pk_add_f32 v[32:33], v[146:147], v[32:33]
	v_mov_b32_e32 v155, v115
	v_pk_mul_f32 v[146:147], v[44:45], s[84:85] op_sel_hi:[1,0]
	v_pk_fma_f32 v[142:143], v[36:37], s[58:59], v[156:157] op_sel:[0,0,1] op_sel_hi:[1,0,0] neg_lo:[0,0,1] neg_hi:[0,0,1]
	v_pk_mul_f32 v[148:149], v[46:47], s[92:93] op_sel_hi:[1,0]
	v_mov_b32_e32 v144, v138
	v_pk_add_f32 v[32:33], v[154:155], v[32:33]
	v_pk_fma_f32 v[140:141], v[40:41], s[66:67], v[146:147] op_sel:[0,0,1] op_sel_hi:[1,0,0]
	v_mov_b32_e32 v145, v143
	v_pk_fma_f32 v[146:147], v[40:41], s[66:67], v[146:147] op_sel:[0,0,1] op_sel_hi:[1,0,0] neg_lo:[0,0,1] neg_hi:[0,0,1]
	v_mov_b32_e32 v152, v140
	ds_write2_b64 v235, v[150:151], v[32:33] offset0:2 offset1:3
	v_pk_add_f32 v[32:33], v[0:1], v[144:145]
	v_mov_b32_e32 v153, v147
	v_pk_fma_f32 v[144:145], v[52:53], s[60:61], v[148:149] op_sel:[0,0,1] op_sel_hi:[1,0,0]
	v_pk_fma_f32 v[148:149], v[52:53], s[60:61], v[148:149] op_sel:[0,0,1] op_sel_hi:[1,0,0] neg_lo:[0,0,1] neg_hi:[0,0,1]
	v_pk_add_f32 v[32:33], v[152:153], v[32:33]
	v_mov_b32_e32 v150, v144
	v_mov_b32_e32 v151, v149
	v_pk_mul_f32 v[152:153], v[60:61], s[94:95] op_sel_hi:[1,0]
	v_pk_add_f32 v[32:33], v[150:151], v[32:33]
	v_pk_fma_f32 v[150:151], v[58:59], s[54:55], v[152:153] op_sel:[0,0,1] op_sel_hi:[1,0,0]
	v_pk_fma_f32 v[152:153], v[58:59], s[54:55], v[152:153] op_sel:[0,0,1] op_sel_hi:[1,0,0] neg_lo:[0,0,1] neg_hi:[0,0,1]
	v_mov_b32_e32 v154, v150
	v_mov_b32_e32 v155, v153
	v_pk_add_f32 v[32:33], v[154:155], v[32:33]
	v_pk_fma_f32 v[154:155], v[70:71], s[56:57], v[126:127] op_sel:[0,0,1] op_sel_hi:[1,0,0]
	v_pk_fma_f32 v[126:127], v[70:71], s[56:57], v[126:127] op_sel:[0,0,1] op_sel_hi:[1,0,0] neg_lo:[0,0,1] neg_hi:[0,0,1]
	v_pk_mul_f32 v[102:103], v[44:45], s[6:7] op_sel_hi:[1,0]
	v_mov_b32_e32 v156, v154
	v_mov_b32_e32 v157, v127
	v_pk_mul_f32 v[158:159], v[68:69], s[30:31] op_sel_hi:[1,0]
	v_readlane_b32 s6, v255, 20
	v_pk_add_f32 v[32:33], v[156:157], v[32:33]
	v_pk_fma_f32 v[156:157], v[128:129], s[64:65], v[158:159] op_sel:[0,0,1] op_sel_hi:[1,0,0]
	v_pk_fma_f32 v[158:159], v[128:129], s[64:65], v[158:159] op_sel:[0,0,1] op_sel_hi:[1,0,0] neg_lo:[0,0,1] neg_hi:[0,0,1]
	v_readlane_b32 s7, v255, 21
	v_mov_b32_e32 v160, v156
	v_mov_b32_e32 v161, v159
	v_pk_mul_f32 v[162:163], v[134:135], s[6:7] op_sel_hi:[1,0]
	v_pk_add_f32 v[32:33], v[160:161], v[32:33]
	v_pk_fma_f32 v[160:161], v[130:131], s[62:63], v[162:163] op_sel:[0,0,1] op_sel_hi:[1,0,0]
	v_pk_fma_f32 v[162:163], v[130:131], s[62:63], v[162:163] op_sel:[0,0,1] op_sel_hi:[1,0,0] neg_lo:[0,0,1] neg_hi:[0,0,1]
	v_mov_b32_e32 v164, v160
	v_mov_b32_e32 v165, v163
	v_pk_mul_f32 v[166:167], v[136:137], s[96:97] op_sel_hi:[1,0]
	v_pk_add_f32 v[32:33], v[164:165], v[32:33]
	v_pk_fma_f32 v[164:165], v[132:133], s[2:3], v[166:167] op_sel:[0,0,1] op_sel_hi:[1,0,0]
	v_pk_fma_f32 v[166:167], v[132:133], s[2:3], v[166:167] op_sel:[0,0,1] op_sel_hi:[1,0,0] neg_lo:[0,0,1] neg_hi:[0,0,1]
	v_mov_b32_e32 v168, v164
	v_mov_b32_e32 v169, v167
	v_pk_add_f32 v[32:33], v[168:169], v[32:33]
	v_pk_mul_f32 v[168:169], v[38:39], s[0:1] op_sel_hi:[1,0]
	v_pk_mul_f32 v[196:197], v[44:45], s[92:93] op_sel_hi:[1,0]
	v_pk_fma_f32 v[170:171], v[36:37], s[60:61], v[168:169] op_sel:[0,0,1] op_sel_hi:[1,0,0]
	v_pk_fma_f32 v[168:169], v[36:37], s[60:61], v[168:169] op_sel:[0,0,1] op_sel_hi:[1,0,0] neg_lo:[0,0,1] neg_hi:[0,0,1]
	v_mov_b32_e32 v172, v170
	v_mov_b32_e32 v173, v169
	v_pk_add_f32 v[174:175], v[0:1], v[172:173]
	v_pk_fma_f32 v[172:173], v[40:41], s[64:65], v[102:103] op_sel:[0,0,1] op_sel_hi:[1,0,0]
	v_pk_fma_f32 v[102:103], v[40:41], s[64:65], v[102:103] op_sel:[0,0,1] op_sel_hi:[1,0,0] neg_lo:[0,0,1] neg_hi:[0,0,1]
	v_mov_b32_e32 v176, v172
	v_mov_b32_e32 v177, v103
	v_pk_add_f32 v[178:179], v[176:177], v[174:175]
	v_pk_mul_f32 v[176:177], v[46:47], s[96:97] op_sel_hi:[1,0]
	v_pk_fma_f32 v[202:203], v[40:41], s[60:61], v[196:197] op_sel:[0,0,1] op_sel_hi:[1,0,0]
	v_pk_fma_f32 v[174:175], v[52:53], s[2:3], v[176:177] op_sel:[0,0,1] op_sel_hi:[1,0,0]
	v_pk_fma_f32 v[176:177], v[52:53], s[2:3], v[176:177] op_sel:[0,0,1] op_sel_hi:[1,0,0] neg_lo:[0,0,1] neg_hi:[0,0,1]
	v_mov_b32_e32 v180, v174
	v_mov_b32_e32 v181, v177
	v_pk_add_f32 v[180:181], v[180:181], v[178:179]
	v_pk_fma_f32 v[178:179], v[58:59], s[56:57], v[108:109] op_sel:[0,0,1] op_sel_hi:[1,0,0]
	v_pk_fma_f32 v[108:109], v[58:59], s[56:57], v[108:109] op_sel:[0,0,1] op_sel_hi:[1,0,0] neg_lo:[0,0,1] neg_hi:[0,0,1]
	v_mov_b32_e32 v182, v178
	v_mov_b32_e32 v183, v109
	v_pk_add_f32 v[184:185], v[182:183], v[180:181]
	v_pk_mul_f32 v[182:183], v[50:51], s[84:85] op_sel_hi:[1,0]
	v_pk_fma_f32 v[196:197], v[40:41], s[60:61], v[196:197] op_sel:[0,0,1] op_sel_hi:[1,0,0] neg_lo:[0,0,1] neg_hi:[0,0,1]
	v_pk_fma_f32 v[180:181], v[70:71], s[66:67], v[182:183] op_sel:[0,0,1] op_sel_hi:[1,0,0]
	v_pk_fma_f32 v[182:183], v[70:71], s[66:67], v[182:183] op_sel:[0,0,1] op_sel_hi:[1,0,0] neg_lo:[0,0,1] neg_hi:[0,0,1]
	v_mov_b32_e32 v186, v180
	v_mov_b32_e32 v187, v183
	v_pk_add_f32 v[188:189], v[186:187], v[184:185]
	v_pk_mul_f32 v[186:187], v[68:69], s[34:35] op_sel_hi:[1,0]
	v_mov_b32_e32 v204, v202
	v_pk_fma_f32 v[184:185], v[128:129], s[58:59], v[186:187] op_sel:[0,0,1] op_sel_hi:[1,0,0]
	v_pk_fma_f32 v[186:187], v[128:129], s[58:59], v[186:187] op_sel:[0,0,1] op_sel_hi:[1,0,0] neg_lo:[0,0,1] neg_hi:[0,0,1]
	v_mov_b32_e32 v190, v184
	v_mov_b32_e32 v191, v187
	v_pk_add_f32 v[192:193], v[190:191], v[188:189]
	v_pk_mul_f32 v[190:191], v[134:135], s[4:5] op_sel_hi:[1,0]
	v_mov_b32_e32 v205, v197
	v_pk_fma_f32 v[188:189], v[130:131], s[54:55], v[190:191] op_sel:[0,0,1] op_sel_hi:[1,0,0]
	v_pk_fma_f32 v[190:191], v[130:131], s[54:55], v[190:191] op_sel:[0,0,1] op_sel_hi:[1,0,0] neg_lo:[0,0,1] neg_hi:[0,0,1]
	v_mov_b32_e32 v194, v188
	v_mov_b32_e32 v195, v191
	v_pk_add_f32 v[198:199], v[194:195], v[192:193]
	v_pk_mul_f32 v[194:195], v[136:137], s[28:29] op_sel_hi:[1,0]
	v_pk_mul_f32 v[236:237], v[44:45], s[86:87] op_sel_hi:[1,0]
	v_pk_fma_f32 v[192:193], v[132:133], s[62:63], v[194:195] op_sel:[0,0,1] op_sel_hi:[1,0,0]
	v_pk_fma_f32 v[194:195], v[132:133], s[62:63], v[194:195] op_sel:[0,0,1] op_sel_hi:[1,0,0] neg_lo:[0,0,1] neg_hi:[0,0,1]
	v_mov_b32_e32 v200, v192
	v_mov_b32_e32 v201, v195
	v_pk_add_f32 v[198:199], v[200:201], v[198:199]
	ds_write2_b64 v235, v[32:33], v[198:199] offset0:4 offset1:5
	v_pk_mul_f32 v[32:33], v[38:39], s[28:29] op_sel_hi:[1,0]
	v_pk_fma_f32 v[238:239], v[40:41], s[56:57], v[236:237] op_sel:[0,0,1] op_sel_hi:[1,0,0]
	v_pk_fma_f32 v[198:199], v[36:37], s[62:63], v[32:33] op_sel:[0,0,1] op_sel_hi:[1,0,0]
	v_pk_fma_f32 v[32:33], v[36:37], s[62:63], v[32:33] op_sel:[0,0,1] op_sel_hi:[1,0,0] neg_lo:[0,0,1] neg_hi:[0,0,1]
	v_mov_b32_e32 v200, v198
	v_mov_b32_e32 v201, v33
	v_pk_add_f32 v[200:201], v[0:1], v[200:201]
	v_pk_fma_f32 v[236:237], v[40:41], s[56:57], v[236:237] op_sel:[0,0,1] op_sel_hi:[1,0,0] neg_lo:[0,0,1] neg_hi:[0,0,1]
	v_pk_add_f32 v[200:201], v[204:205], v[200:201]
	v_pk_mul_f32 v[204:205], v[46:47], s[4:5] op_sel_hi:[1,0]
	v_mov_b32_e32 v240, v238
	v_pk_fma_f32 v[206:207], v[52:53], s[54:55], v[204:205] op_sel:[0,0,1] op_sel_hi:[1,0,0]
	v_pk_fma_f32 v[204:205], v[52:53], s[54:55], v[204:205] op_sel:[0,0,1] op_sel_hi:[1,0,0] neg_lo:[0,0,1] neg_hi:[0,0,1]
	v_mov_b32_e32 v208, v206
	v_mov_b32_e32 v209, v205
	v_pk_add_f32 v[200:201], v[208:209], v[200:201]
	v_pk_mul_f32 v[208:209], v[60:61], s[30:31] op_sel_hi:[1,0]
	v_mov_b32_e32 v241, v237
	v_pk_fma_f32 v[210:211], v[58:59], s[64:65], v[208:209] op_sel:[0,0,1] op_sel_hi:[1,0,0]
	v_pk_fma_f32 v[208:209], v[58:59], s[64:65], v[208:209] op_sel:[0,0,1] op_sel_hi:[1,0,0] neg_lo:[0,0,1] neg_hi:[0,0,1]
	v_mov_b32_e32 v212, v210
	v_mov_b32_e32 v213, v209
	;; [unrolled: 7-line block ×7, first 2 shown]
	v_pk_add_f32 v[232:233], v[0:1], v[232:233]
	v_mov_b32_e32 v229, v231
	v_pk_add_f32 v[232:233], v[240:241], v[232:233]
	v_pk_mul_f32 v[240:241], v[46:47], s[26:27] op_sel_hi:[1,0]
	v_mov_b32_e32 v213, v215
	v_pk_fma_f32 v[242:243], v[52:53], s[58:59], v[240:241] op_sel:[0,0,1] op_sel_hi:[1,0,0]
	v_pk_fma_f32 v[240:241], v[52:53], s[58:59], v[240:241] op_sel:[0,0,1] op_sel_hi:[1,0,0] neg_lo:[0,0,1] neg_hi:[0,0,1]
	v_mov_b32_e32 v244, v242
	v_mov_b32_e32 v245, v241
	v_pk_add_f32 v[232:233], v[244:245], v[232:233]
	v_pk_mul_f32 v[244:245], v[60:61], s[6:7] op_sel_hi:[1,0]
	v_mov_b32_e32 v241, v243
	v_pk_fma_f32 v[246:247], v[58:59], s[62:63], v[244:245] op_sel:[0,0,1] op_sel_hi:[1,0,0]
	v_pk_fma_f32 v[244:245], v[58:59], s[62:63], v[244:245] op_sel:[0,0,1] op_sel_hi:[1,0,0] neg_lo:[0,0,1] neg_hi:[0,0,1]
	v_mov_b32_e32 v248, v246
	v_mov_b32_e32 v249, v245
	v_pk_add_f32 v[232:233], v[248:249], v[232:233]
	v_pk_mul_f32 v[248:249], v[50:51], s[4:5] op_sel_hi:[1,0]
	v_pk_mul_f32 v[50:51], v[50:51], s[28:29] op_sel_hi:[1,0]
	v_pk_fma_f32 v[250:251], v[70:71], s[54:55], v[248:249] op_sel:[0,0,1] op_sel_hi:[1,0,0]
	v_pk_fma_f32 v[248:249], v[70:71], s[54:55], v[248:249] op_sel:[0,0,1] op_sel_hi:[1,0,0] neg_lo:[0,0,1] neg_hi:[0,0,1]
	v_mov_b32_e32 v252, v250
	v_mov_b32_e32 v253, v249
	v_pk_add_f32 v[232:233], v[252:253], v[232:233]
	v_pk_mul_f32 v[252:253], v[68:69], s[84:85] op_sel_hi:[1,0]
	v_pk_mul_f32 v[68:69], v[68:69], s[86:87] op_sel_hi:[1,0]
	v_pk_fma_f32 v[12:13], v[128:129], s[66:67], v[252:253] op_sel:[0,0,1] op_sel_hi:[1,0,0]
	v_pk_fma_f32 v[252:253], v[128:129], s[66:67], v[252:253] op_sel:[0,0,1] op_sel_hi:[1,0,0] neg_lo:[0,0,1] neg_hi:[0,0,1]
	v_mov_b32_e32 v2, v12
	v_mov_b32_e32 v3, v253
	v_pk_add_f32 v[2:3], v[2:3], v[232:233]
	v_pk_mul_f32 v[232:233], v[134:135], s[96:97] op_sel_hi:[1,0]
	v_mov_b32_e32 v245, v247
	v_pk_fma_f32 v[10:11], v[130:131], s[2:3], v[232:233] op_sel:[0,0,1] op_sel_hi:[1,0,0]
	v_pk_fma_f32 v[232:233], v[130:131], s[2:3], v[232:233] op_sel:[0,0,1] op_sel_hi:[1,0,0] neg_lo:[0,0,1] neg_hi:[0,0,1]
	v_mov_b32_e32 v4, v10
	v_mov_b32_e32 v5, v233
	v_pk_add_f32 v[2:3], v[4:5], v[2:3]
	v_pk_mul_f32 v[4:5], v[136:137], s[0:1] op_sel_hi:[1,0]
	v_mov_b32_e32 v249, v251
	v_pk_fma_f32 v[8:9], v[132:133], s[60:61], v[4:5] op_sel:[0,0,1] op_sel_hi:[1,0,0]
	v_pk_fma_f32 v[4:5], v[132:133], s[60:61], v[4:5] op_sel:[0,0,1] op_sel_hi:[1,0,0] neg_lo:[0,0,1] neg_hi:[0,0,1]
	v_mov_b32_e32 v6, v8
	v_mov_b32_e32 v7, v5
	v_pk_add_f32 v[2:3], v[6:7], v[2:3]
	ds_write2_b64 v235, v[200:201], v[2:3] offset0:6 offset1:7
	v_pk_mul_f32 v[2:3], v[38:39], s[84:85] op_sel_hi:[1,0]
	v_mov_b32_e32 v253, v13
	v_pk_fma_f32 v[6:7], v[36:37], s[66:67], v[2:3] op_sel:[0,0,1] op_sel_hi:[1,0,0]
	v_pk_fma_f32 v[2:3], v[36:37], s[66:67], v[2:3] op_sel:[0,0,1] op_sel_hi:[1,0,0] neg_lo:[0,0,1] neg_hi:[0,0,1]
	v_pk_mul_f32 v[36:37], v[44:45], s[94:95] op_sel_hi:[1,0]
	v_mov_b32_e32 v233, v11
	v_pk_fma_f32 v[38:39], v[40:41], s[54:55], v[36:37] op_sel:[0,0,1] op_sel_hi:[1,0,0]
	v_pk_fma_f32 v[36:37], v[40:41], s[54:55], v[36:37] op_sel:[0,0,1] op_sel_hi:[1,0,0] neg_lo:[0,0,1] neg_hi:[0,0,1]
	v_mov_b32_e32 v40, v6
	v_mov_b32_e32 v41, v3
	v_pk_add_f32 v[40:41], v[0:1], v[40:41]
	v_mov_b32_e32 v44, v38
	v_mov_b32_e32 v45, v37
	v_pk_add_f32 v[40:41], v[44:45], v[40:41]
	v_pk_mul_f32 v[44:45], v[46:47], s[30:31] op_sel_hi:[1,0]
	v_mov_b32_e32 v3, v7
	v_pk_fma_f32 v[46:47], v[52:53], s[64:65], v[44:45] op_sel:[0,0,1] op_sel_hi:[1,0,0]
	v_pk_fma_f32 v[44:45], v[52:53], s[64:65], v[44:45] op_sel:[0,0,1] op_sel_hi:[1,0,0] neg_lo:[0,0,1] neg_hi:[0,0,1]
	v_mov_b32_e32 v52, v46
	v_mov_b32_e32 v53, v45
	v_pk_add_f32 v[40:41], v[52:53], v[40:41]
	v_pk_mul_f32 v[52:53], v[60:61], s[96:97] op_sel_hi:[1,0]
	v_mov_b32_e32 v37, v39
	v_pk_fma_f32 v[60:61], v[58:59], s[2:3], v[52:53] op_sel:[0,0,1] op_sel_hi:[1,0,0]
	v_pk_fma_f32 v[52:53], v[58:59], s[2:3], v[52:53] op_sel:[0,0,1] op_sel_hi:[1,0,0] neg_lo:[0,0,1] neg_hi:[0,0,1]
	v_mov_b32_e32 v58, v60
	v_mov_b32_e32 v59, v53
	v_pk_add_f32 v[40:41], v[58:59], v[40:41]
	v_pk_fma_f32 v[58:59], v[70:71], s[62:63], v[50:51] op_sel:[0,0,1] op_sel_hi:[1,0,0]
	v_pk_fma_f32 v[50:51], v[70:71], s[62:63], v[50:51] op_sel:[0,0,1] op_sel_hi:[1,0,0] neg_lo:[0,0,1] neg_hi:[0,0,1]
	v_mov_b32_e32 v70, v58
	v_mov_b32_e32 v71, v51
	v_pk_add_f32 v[40:41], v[70:71], v[40:41]
	v_pk_fma_f32 v[70:71], v[128:129], s[56:57], v[68:69] op_sel:[0,0,1] op_sel_hi:[1,0,0]
	v_pk_fma_f32 v[68:69], v[128:129], s[56:57], v[68:69] op_sel:[0,0,1] op_sel_hi:[1,0,0] neg_lo:[0,0,1] neg_hi:[0,0,1]
	v_mov_b32_e32 v128, v70
	v_mov_b32_e32 v129, v69
	v_pk_add_f32 v[2:3], v[0:1], v[2:3]
	v_pk_add_f32 v[40:41], v[128:129], v[40:41]
	v_pk_mul_f32 v[128:129], v[134:135], s[0:1] op_sel_hi:[1,0]
	v_pk_add_f32 v[2:3], v[36:37], v[2:3]
	v_mov_b32_e32 v45, v47
	v_pk_fma_f32 v[134:135], v[130:131], s[60:61], v[128:129] op_sel:[0,0,1] op_sel_hi:[1,0,0]
	v_pk_fma_f32 v[128:129], v[130:131], s[60:61], v[128:129] op_sel:[0,0,1] op_sel_hi:[1,0,0] neg_lo:[0,0,1] neg_hi:[0,0,1]
	v_pk_add_f32 v[2:3], v[44:45], v[2:3]
	v_mov_b32_e32 v53, v61
	v_mov_b32_e32 v130, v134
	;; [unrolled: 1-line block ×3, first 2 shown]
	v_pk_add_f32 v[2:3], v[52:53], v[2:3]
	v_mov_b32_e32 v51, v59
	v_pk_add_f32 v[40:41], v[130:131], v[40:41]
	v_pk_mul_f32 v[130:131], v[136:137], s[34:35] op_sel_hi:[1,0]
	v_pk_add_f32 v[2:3], v[50:51], v[2:3]
	v_mov_b32_e32 v69, v71
	v_pk_fma_f32 v[136:137], v[132:133], s[58:59], v[130:131] op_sel:[0,0,1] op_sel_hi:[1,0,0]
	v_pk_fma_f32 v[130:131], v[132:133], s[58:59], v[130:131] op_sel:[0,0,1] op_sel_hi:[1,0,0] neg_lo:[0,0,1] neg_hi:[0,0,1]
	v_pk_add_f32 v[2:3], v[68:69], v[2:3]
	v_mov_b32_e32 v129, v135
	v_mov_b32_e32 v132, v136
	;; [unrolled: 1-line block ×3, first 2 shown]
	v_pk_add_f32 v[2:3], v[128:129], v[2:3]
	v_mov_b32_e32 v131, v137
	v_pk_add_f32 v[40:41], v[132:133], v[40:41]
	v_pk_add_f32 v[2:3], v[130:131], v[2:3]
	ds_write2_b64 v235, v[40:41], v[2:3] offset0:8 offset1:9
	v_pk_add_f32 v[2:3], v[0:1], v[228:229]
	v_mov_b32_e32 v5, v9
	v_pk_add_f32 v[2:3], v[236:237], v[2:3]
	v_mov_b32_e32 v217, v219
	v_pk_add_f32 v[2:3], v[240:241], v[2:3]
	v_mov_b32_e32 v221, v223
	v_pk_add_f32 v[2:3], v[244:245], v[2:3]
	v_mov_b32_e32 v225, v227
	v_pk_add_f32 v[2:3], v[248:249], v[2:3]
	v_mov_b32_e32 v169, v171
	v_pk_add_f32 v[2:3], v[252:253], v[2:3]
	v_mov_b32_e32 v143, v139
	v_pk_add_f32 v[2:3], v[232:233], v[2:3]
	v_mov_b32_e32 v103, v173
	v_pk_add_f32 v[2:3], v[4:5], v[2:3]
	v_pk_add_f32 v[4:5], v[0:1], v[32:33]
	v_mov_b32_e32 v147, v141
	v_pk_add_f32 v[4:5], v[196:197], v[4:5]
	v_mov_b32_e32 v177, v175
	;; [unrolled: 2-line block ×7, first 2 shown]
	v_pk_add_f32 v[4:5], v[224:225], v[4:5]
	ds_write2_b64 v235, v[2:3], v[4:5] offset0:10 offset1:11
	v_pk_add_f32 v[2:3], v[0:1], v[168:169]
	v_pk_add_f32 v[4:5], v[0:1], v[142:143]
	v_pk_add_f32 v[2:3], v[102:103], v[2:3]
	v_pk_add_f32 v[4:5], v[146:147], v[4:5]
	v_pk_add_f32 v[2:3], v[176:177], v[2:3]
	v_pk_add_f32 v[4:5], v[148:149], v[4:5]
	v_pk_add_f32 v[2:3], v[108:109], v[2:3]
	v_pk_add_f32 v[4:5], v[152:153], v[4:5]
	v_pk_add_f32 v[2:3], v[182:183], v[2:3]
	v_mov_b32_e32 v187, v185
	v_pk_add_f32 v[4:5], v[126:127], v[4:5]
	v_mov_b32_e32 v159, v157
	v_pk_add_f32 v[2:3], v[186:187], v[2:3]
	;; [unrolled: 2-line block ×6, first 2 shown]
	v_pk_add_f32 v[4:5], v[166:167], v[4:5]
	v_mov_b32_e32 v121, v31
	v_mov_b32_e32 v73, v79
	v_accvgpr_read_b32 v25, a1
	ds_write2_b64 v235, v[2:3], v[4:5] offset0:12 offset1:13
	v_mov_b32_e32 v123, v95
	v_pk_add_f32 v[2:3], v[0:1], v[120:121]
	v_pk_add_f32 v[6:7], v[0:1], v[72:73]
	v_mov_b32_e32 v65, v81
	v_pk_add_f32 v[0:1], v[0:1], v[24:25]
	v_accvgpr_read_b32 v35, a3
	v_pk_add_f32 v[2:3], v[122:123], v[2:3]
	v_mov_b32_e32 v125, v97
	v_pk_add_f32 v[6:7], v[64:65], v[6:7]
	v_mov_b32_e32 v75, v83
	v_pk_add_f32 v[0:1], v[34:35], v[0:1]
	v_accvgpr_read_b32 v23, a5
	v_pk_add_f32 v[2:3], v[124:125], v[2:3]
	v_mov_b32_e32 v113, v101
	v_pk_add_f32 v[6:7], v[74:75], v[6:7]
	v_mov_b32_e32 v77, v57
	v_pk_add_f32 v[0:1], v[22:23], v[0:1]
	v_accvgpr_read_b32 v21, a7
	v_readlane_b32 s0, v255, 0
	v_pk_add_f32 v[2:3], v[112:113], v[2:3]
	v_mov_b32_e32 v119, v99
	v_pk_add_f32 v[6:7], v[76:77], v[6:7]
	v_mov_b32_e32 v87, v55
	v_pk_add_f32 v[0:1], v[20:21], v[0:1]
	v_accvgpr_read_b32 v15, a9
	v_readlane_b32 s1, v255, 1
	v_pk_add_f32 v[2:3], v[118:119], v[2:3]
	v_mov_b32_e32 v117, v105
	v_pk_add_f32 v[6:7], v[86:87], v[6:7]
	v_mov_b32_e32 v89, v49
	v_pk_add_f32 v[0:1], v[14:15], v[0:1]
	v_accvgpr_read_b32 v17, a11
	s_load_dwordx2 s[0:1], s[0:1], 0x38
	v_pk_add_f32 v[2:3], v[116:117], v[2:3]
	v_mov_b32_e32 v111, v107
	v_pk_add_f32 v[6:7], v[88:89], v[6:7]
	v_mov_b32_e32 v91, v43
	;; [unrolled: 2-line block ×6, first 2 shown]
	v_pk_add_f32 v[2:3], v[114:115], v[2:3]
	v_pk_add_f32 v[6:7], v[92:93], v[6:7]
	;; [unrolled: 1-line block ×3, first 2 shown]
	ds_write2_b64 v235, v[2:3], v[6:7] offset0:14 offset1:15
	ds_write_b64 v235, v[0:1] offset:128
	s_waitcnt lgkmcnt(0)
	s_barrier
	ds_read2_b64 v[0:3], v235 offset1:1
	v_mov_b32_e32 v8, s0
	v_mov_b32_e32 v9, s1
	v_mad_u64_u32 v[10:11], s[0:1], s90, v234, 0
	v_mov_b32_e32 v4, v11
	v_mad_u64_u32 v[4:5], s[0:1], s91, v234, v[4:5]
	v_mov_b32_e32 v11, v4
	ds_read2_b64 v[4:7], v235 offset0:2 offset1:3
	s_waitcnt lgkmcnt(1)
	v_mul_f32_e32 v12, s37, v1
	v_fmac_f32_e32 v12, s36, v0
	v_mul_f32_e32 v0, s37, v0
	s_mov_b32 s0, 0x1e1e1e1e
	v_fma_f32 v0, s36, v1, -v0
	v_cvt_f64_f32_e32 v[12:13], v12
	s_mov_b32 s1, 0x3fae1e1e
	v_cvt_f64_f32_e32 v[0:1], v0
	v_mul_f64 v[12:13], v[12:13], s[0:1]
	v_mul_f64 v[0:1], v[0:1], s[0:1]
	v_cvt_f32_f64_e32 v12, v[12:13]
	v_cvt_f32_f64_e32 v13, v[0:1]
	v_lshl_add_u64 v[0:1], v[10:11], 3, v[8:9]
	v_mul_f32_e32 v8, s39, v3
	v_fmac_f32_e32 v8, s38, v2
	v_mul_f32_e32 v2, s39, v2
	v_fma_f32 v2, s38, v3, -v2
	v_cvt_f64_f32_e32 v[8:9], v8
	v_cvt_f64_f32_e32 v[2:3], v2
	v_mul_f64 v[8:9], v[8:9], s[0:1]
	v_mul_f64 v[2:3], v[2:3], s[0:1]
	v_cvt_f32_f64_e32 v8, v[8:9]
	v_cvt_f32_f64_e32 v9, v[2:3]
	v_lshl_add_u64 v[2:3], s[88:89], 3, v[0:1]
	global_store_dwordx2 v[0:1], v[12:13], off
	global_store_dwordx2 v[2:3], v[8:9], off
	s_waitcnt lgkmcnt(0)
	v_mul_f32_e32 v2, s41, v5
	v_fmac_f32_e32 v2, s40, v4
	v_cvt_f64_f32_e32 v[2:3], v2
	v_mul_f64 v[2:3], v[2:3], s[0:1]
	v_cvt_f32_f64_e32 v2, v[2:3]
	v_mul_f32_e32 v3, s41, v4
	v_fma_f32 v3, s40, v5, -v3
	v_cvt_f64_f32_e32 v[4:5], v3
	v_mul_f64 v[4:5], v[4:5], s[0:1]
	v_cvt_f32_f64_e32 v3, v[4:5]
	v_lshl_add_u64 v[4:5], s[88:89], 4, v[0:1]
	global_store_dwordx2 v[4:5], v[2:3], off
	v_mul_f32_e32 v2, s43, v7
	v_fmac_f32_e32 v2, s42, v6
	v_cvt_f64_f32_e32 v[2:3], v2
	v_mul_f64 v[2:3], v[2:3], s[0:1]
	v_cvt_f32_f64_e32 v8, v[2:3]
	v_mul_f32_e32 v2, s43, v6
	v_fma_f32 v2, s42, v7, -v2
	v_cvt_f64_f32_e32 v[2:3], v2
	v_mul_f64 v[2:3], v[2:3], s[0:1]
	v_cvt_f32_f64_e32 v9, v[2:3]
	ds_read2_b64 v[2:5], v235 offset0:4 offset1:5
	v_mad_u64_u32 v[6:7], s[2:3], s88, 24, v[0:1]
	v_mov_b32_e32 v10, v7
	v_mad_u64_u32 v[10:11], s[2:3], s89, 24, v[10:11]
	v_mov_b32_e32 v7, v10
	global_store_dwordx2 v[6:7], v[8:9], off
	ds_read2_b64 v[6:9], v235 offset0:6 offset1:7
	s_waitcnt lgkmcnt(1)
	v_mul_f32_e32 v10, s45, v3
	v_fmac_f32_e32 v10, s44, v2
	v_mul_f32_e32 v2, s45, v2
	v_fma_f32 v2, s44, v3, -v2
	v_cvt_f64_f32_e32 v[10:11], v10
	v_cvt_f64_f32_e32 v[2:3], v2
	v_mul_f64 v[10:11], v[10:11], s[0:1]
	v_mul_f64 v[2:3], v[2:3], s[0:1]
	s_lshl_b64 s[2:3], s[88:89], 5
	v_cvt_f32_f64_e32 v10, v[10:11]
	v_cvt_f32_f64_e32 v11, v[2:3]
	v_lshl_add_u64 v[2:3], v[0:1], 0, s[2:3]
	global_store_dwordx2 v[2:3], v[10:11], off
	v_mul_f32_e32 v2, s47, v5
	v_fmac_f32_e32 v2, s46, v4
	v_cvt_f64_f32_e32 v[2:3], v2
	v_mul_f64 v[2:3], v[2:3], s[0:1]
	v_cvt_f32_f64_e32 v2, v[2:3]
	v_mul_f32_e32 v3, s47, v4
	v_fma_f32 v3, s46, v5, -v3
	v_cvt_f64_f32_e32 v[4:5], v3
	v_mul_f64 v[4:5], v[4:5], s[0:1]
	v_cvt_f32_f64_e32 v3, v[4:5]
	v_mad_u64_u32 v[4:5], s[2:3], s88, 40, v[0:1]
	v_mov_b32_e32 v10, v5
	v_mad_u64_u32 v[10:11], s[2:3], s89, 40, v[10:11]
	v_mov_b32_e32 v5, v10
	global_store_dwordx2 v[4:5], v[2:3], off
	s_waitcnt lgkmcnt(0)
	v_mul_f32_e32 v2, s49, v7
	v_fmac_f32_e32 v2, s48, v6
	v_cvt_f64_f32_e32 v[2:3], v2
	v_mul_f64 v[2:3], v[2:3], s[0:1]
	v_cvt_f32_f64_e32 v2, v[2:3]
	v_mul_f32_e32 v3, s49, v6
	v_fma_f32 v3, s48, v7, -v3
	v_cvt_f64_f32_e32 v[4:5], v3
	v_mul_f64 v[4:5], v[4:5], s[0:1]
	v_cvt_f32_f64_e32 v3, v[4:5]
	v_mad_u64_u32 v[4:5], s[2:3], s88, 48, v[0:1]
	v_mov_b32_e32 v6, v5
	v_mad_u64_u32 v[6:7], s[2:3], s89, 48, v[6:7]
	v_mov_b32_e32 v5, v6
	global_store_dwordx2 v[4:5], v[2:3], off
	v_mul_f32_e32 v2, s51, v9
	v_fmac_f32_e32 v2, s50, v8
	v_cvt_f64_f32_e32 v[2:3], v2
	v_mul_f64 v[2:3], v[2:3], s[0:1]
	v_cvt_f32_f64_e32 v6, v[2:3]
	v_mul_f32_e32 v2, s51, v8
	v_fma_f32 v2, s50, v9, -v2
	v_cvt_f64_f32_e32 v[2:3], v2
	v_mul_f64 v[2:3], v[2:3], s[0:1]
	v_cvt_f32_f64_e32 v7, v[2:3]
	ds_read2_b64 v[2:5], v235 offset0:8 offset1:9
	v_mad_u64_u32 v[8:9], s[2:3], s88, 56, v[0:1]
	v_mov_b32_e32 v10, v9
	v_mad_u64_u32 v[10:11], s[2:3], s89, 56, v[10:11]
	v_mov_b32_e32 v9, v10
	global_store_dwordx2 v[8:9], v[6:7], off
	ds_read2_b64 v[6:9], v235 offset0:10 offset1:11
	s_waitcnt lgkmcnt(1)
	v_mul_f32_e32 v10, s9, v3
	v_fmac_f32_e32 v10, s8, v2
	v_mul_f32_e32 v2, s9, v2
	v_fma_f32 v2, s8, v3, -v2
	v_cvt_f64_f32_e32 v[10:11], v10
	v_cvt_f64_f32_e32 v[2:3], v2
	v_mul_f64 v[10:11], v[10:11], s[0:1]
	v_mul_f64 v[2:3], v[2:3], s[0:1]
	s_lshl_b64 s[2:3], s[88:89], 6
	v_cvt_f32_f64_e32 v10, v[10:11]
	v_cvt_f32_f64_e32 v11, v[2:3]
	v_lshl_add_u64 v[2:3], v[0:1], 0, s[2:3]
	global_store_dwordx2 v[2:3], v[10:11], off
	v_mul_f32_e32 v2, s11, v5
	v_fmac_f32_e32 v2, s10, v4
	v_cvt_f64_f32_e32 v[2:3], v2
	v_mul_f64 v[2:3], v[2:3], s[0:1]
	v_cvt_f32_f64_e32 v2, v[2:3]
	v_mul_f32_e32 v3, s11, v4
	v_fma_f32 v3, s10, v5, -v3
	v_cvt_f64_f32_e32 v[4:5], v3
	v_mul_f64 v[4:5], v[4:5], s[0:1]
	v_cvt_f32_f64_e32 v3, v[4:5]
	v_mov_b32_e32 v4, 0x48
	v_mad_u64_u32 v[4:5], s[2:3], s88, v4, v[0:1]
	s_mul_i32 s2, s89, 0x48
	s_nop 0
	v_add_u32_e32 v5, s2, v5
	global_store_dwordx2 v[4:5], v[2:3], off
	s_waitcnt lgkmcnt(0)
	v_mul_f32_e32 v2, s13, v7
	v_fmac_f32_e32 v2, s12, v6
	v_cvt_f64_f32_e32 v[2:3], v2
	v_mul_f64 v[2:3], v[2:3], s[0:1]
	v_cvt_f32_f64_e32 v2, v[2:3]
	v_mul_f32_e32 v3, s13, v6
	v_fma_f32 v3, s12, v7, -v3
	v_cvt_f64_f32_e32 v[4:5], v3
	v_mul_f64 v[4:5], v[4:5], s[0:1]
	v_cvt_f32_f64_e32 v3, v[4:5]
	v_mov_b32_e32 v4, 0x50
	v_mad_u64_u32 v[4:5], s[2:3], s88, v4, v[0:1]
	s_mul_i32 s2, s89, 0x50
	s_nop 0
	v_add_u32_e32 v5, s2, v5
	global_store_dwordx2 v[4:5], v[2:3], off
	v_mul_f32_e32 v2, s15, v9
	v_fmac_f32_e32 v2, s14, v8
	v_cvt_f64_f32_e32 v[2:3], v2
	v_mul_f64 v[2:3], v[2:3], s[0:1]
	v_cvt_f32_f64_e32 v6, v[2:3]
	v_mul_f32_e32 v2, s15, v8
	v_fma_f32 v2, s14, v9, -v2
	v_cvt_f64_f32_e32 v[2:3], v2
	v_mul_f64 v[2:3], v[2:3], s[0:1]
	v_cvt_f32_f64_e32 v7, v[2:3]
	v_mov_b32_e32 v2, 0x58
	v_mad_u64_u32 v[8:9], s[2:3], s88, v2, v[0:1]
	ds_read2_b64 v[2:5], v235 offset0:12 offset1:13
	s_mul_i32 s2, s89, 0x58
	v_add_u32_e32 v9, s2, v9
	global_store_dwordx2 v[8:9], v[6:7], off
	ds_read2_b64 v[6:9], v235 offset0:14 offset1:15
	s_waitcnt lgkmcnt(1)
	v_mul_f32_e32 v10, s17, v3
	v_fmac_f32_e32 v10, s16, v2
	v_mul_f32_e32 v2, s17, v2
	v_fma_f32 v2, s16, v3, -v2
	v_cvt_f64_f32_e32 v[10:11], v10
	v_cvt_f64_f32_e32 v[2:3], v2
	v_mul_f64 v[10:11], v[10:11], s[0:1]
	v_mul_f64 v[2:3], v[2:3], s[0:1]
	v_cvt_f32_f64_e32 v10, v[10:11]
	v_cvt_f32_f64_e32 v11, v[2:3]
	v_mov_b32_e32 v2, 0x60
	v_mad_u64_u32 v[2:3], s[2:3], s88, v2, v[0:1]
	s_mul_i32 s2, s89, 0x60
	s_nop 0
	v_add_u32_e32 v3, s2, v3
	global_store_dwordx2 v[2:3], v[10:11], off
	v_mul_f32_e32 v2, s19, v5
	v_fmac_f32_e32 v2, s18, v4
	v_cvt_f64_f32_e32 v[2:3], v2
	v_mul_f64 v[2:3], v[2:3], s[0:1]
	v_cvt_f32_f64_e32 v2, v[2:3]
	v_mul_f32_e32 v3, s19, v4
	v_fma_f32 v3, s18, v5, -v3
	v_cvt_f64_f32_e32 v[4:5], v3
	v_mul_f64 v[4:5], v[4:5], s[0:1]
	v_cvt_f32_f64_e32 v3, v[4:5]
	v_mov_b32_e32 v4, 0x68
	v_mad_u64_u32 v[4:5], s[2:3], s88, v4, v[0:1]
	s_mul_i32 s2, s89, 0x68
	s_nop 0
	v_add_u32_e32 v5, s2, v5
	global_store_dwordx2 v[4:5], v[2:3], off
	s_waitcnt lgkmcnt(0)
	v_mul_f32_e32 v2, s21, v7
	v_fmac_f32_e32 v2, s20, v6
	v_cvt_f64_f32_e32 v[2:3], v2
	v_mul_f64 v[2:3], v[2:3], s[0:1]
	v_cvt_f32_f64_e32 v2, v[2:3]
	v_mul_f32_e32 v3, s21, v6
	v_fma_f32 v3, s20, v7, -v3
	v_cvt_f64_f32_e32 v[4:5], v3
	v_mul_f64 v[4:5], v[4:5], s[0:1]
	v_cvt_f32_f64_e32 v3, v[4:5]
	v_mad_u64_u32 v[4:5], s[2:3], s88, v254, v[0:1]
	s_mul_i32 s2, s89, 0x70
	s_nop 0
	v_add_u32_e32 v5, s2, v5
	global_store_dwordx2 v[4:5], v[2:3], off
	v_mul_f32_e32 v2, s23, v9
	v_fmac_f32_e32 v2, s22, v8
	v_cvt_f64_f32_e32 v[2:3], v2
	v_mul_f64 v[2:3], v[2:3], s[0:1]
	v_cvt_f32_f64_e32 v2, v[2:3]
	v_mul_f32_e32 v3, s23, v8
	v_fma_f32 v3, s22, v9, -v3
	v_cvt_f64_f32_e32 v[4:5], v3
	v_mul_f64 v[4:5], v[4:5], s[0:1]
	v_cvt_f32_f64_e32 v3, v[4:5]
	ds_read_b64 v[4:5], v235 offset:128
	v_mov_b32_e32 v6, 0x78
	v_mad_u64_u32 v[6:7], s[2:3], s88, v6, v[0:1]
	s_mul_i32 s2, s89, 0x78
	v_readlane_b32 s53, v255, 3
	v_add_u32_e32 v7, s2, v7
	global_store_dwordx2 v[6:7], v[2:3], off
	s_waitcnt lgkmcnt(0)
	v_mul_f32_e32 v2, s53, v5
	v_fmac_f32_e32 v2, s52, v4
	v_cvt_f64_f32_e32 v[2:3], v2
	v_mul_f64 v[2:3], v[2:3], s[0:1]
	v_cvt_f32_f64_e32 v2, v[2:3]
	v_mul_f32_e32 v3, s53, v4
	v_fma_f32 v3, s52, v5, -v3
	v_cvt_f64_f32_e32 v[4:5], v3
	v_mul_f64 v[4:5], v[4:5], s[0:1]
	s_lshl_b64 s[0:1], s[88:89], 7
	v_cvt_f32_f64_e32 v3, v[4:5]
	v_lshl_add_u64 v[0:1], v[0:1], 0, s[0:1]
	global_store_dwordx2 v[0:1], v[2:3], off
.LBB0_2:
	s_endpgm
	.section	.rodata,"a",@progbits
	.p2align	6, 0x0
	.amdhsa_kernel bluestein_single_back_len17_dim1_sp_op_CI_CI
		.amdhsa_group_segment_fixed_size 16320
		.amdhsa_private_segment_fixed_size 0
		.amdhsa_kernarg_size 104
		.amdhsa_user_sgpr_count 2
		.amdhsa_user_sgpr_dispatch_ptr 0
		.amdhsa_user_sgpr_queue_ptr 0
		.amdhsa_user_sgpr_kernarg_segment_ptr 1
		.amdhsa_user_sgpr_dispatch_id 0
		.amdhsa_user_sgpr_kernarg_preload_length 0
		.amdhsa_user_sgpr_kernarg_preload_offset 0
		.amdhsa_user_sgpr_private_segment_size 0
		.amdhsa_uses_dynamic_stack 0
		.amdhsa_enable_private_segment 0
		.amdhsa_system_sgpr_workgroup_id_x 1
		.amdhsa_system_sgpr_workgroup_id_y 0
		.amdhsa_system_sgpr_workgroup_id_z 0
		.amdhsa_system_sgpr_workgroup_info 0
		.amdhsa_system_vgpr_workitem_id 0
		.amdhsa_next_free_vgpr 282
		.amdhsa_next_free_sgpr 100
		.amdhsa_accum_offset 256
		.amdhsa_reserve_vcc 1
		.amdhsa_float_round_mode_32 0
		.amdhsa_float_round_mode_16_64 0
		.amdhsa_float_denorm_mode_32 3
		.amdhsa_float_denorm_mode_16_64 3
		.amdhsa_dx10_clamp 1
		.amdhsa_ieee_mode 1
		.amdhsa_fp16_overflow 0
		.amdhsa_tg_split 0
		.amdhsa_exception_fp_ieee_invalid_op 0
		.amdhsa_exception_fp_denorm_src 0
		.amdhsa_exception_fp_ieee_div_zero 0
		.amdhsa_exception_fp_ieee_overflow 0
		.amdhsa_exception_fp_ieee_underflow 0
		.amdhsa_exception_fp_ieee_inexact 0
		.amdhsa_exception_int_div_zero 0
	.end_amdhsa_kernel
	.text
.Lfunc_end0:
	.size	bluestein_single_back_len17_dim1_sp_op_CI_CI, .Lfunc_end0-bluestein_single_back_len17_dim1_sp_op_CI_CI
                                        ; -- End function
	.section	.AMDGPU.csdata,"",@progbits
; Kernel info:
; codeLenInByte = 13300
; NumSgprs: 106
; NumVgprs: 256
; NumAgprs: 26
; TotalNumVgprs: 282
; ScratchSize: 0
; MemoryBound: 0
; FloatMode: 240
; IeeeMode: 1
; LDSByteSize: 16320 bytes/workgroup (compile time only)
; SGPRBlocks: 13
; VGPRBlocks: 35
; NumSGPRsForWavesPerEU: 106
; NumVGPRsForWavesPerEU: 282
; AccumOffset: 256
; Occupancy: 1
; WaveLimiterHint : 1
; COMPUTE_PGM_RSRC2:SCRATCH_EN: 0
; COMPUTE_PGM_RSRC2:USER_SGPR: 2
; COMPUTE_PGM_RSRC2:TRAP_HANDLER: 0
; COMPUTE_PGM_RSRC2:TGID_X_EN: 1
; COMPUTE_PGM_RSRC2:TGID_Y_EN: 0
; COMPUTE_PGM_RSRC2:TGID_Z_EN: 0
; COMPUTE_PGM_RSRC2:TIDIG_COMP_CNT: 0
; COMPUTE_PGM_RSRC3_GFX90A:ACCUM_OFFSET: 63
; COMPUTE_PGM_RSRC3_GFX90A:TG_SPLIT: 0
	.text
	.p2alignl 6, 3212836864
	.fill 256, 4, 3212836864
	.type	__hip_cuid_74831cc0d0b20c35,@object ; @__hip_cuid_74831cc0d0b20c35
	.section	.bss,"aw",@nobits
	.globl	__hip_cuid_74831cc0d0b20c35
__hip_cuid_74831cc0d0b20c35:
	.byte	0                               ; 0x0
	.size	__hip_cuid_74831cc0d0b20c35, 1

	.ident	"AMD clang version 19.0.0git (https://github.com/RadeonOpenCompute/llvm-project roc-6.4.0 25133 c7fe45cf4b819c5991fe208aaa96edf142730f1d)"
	.section	".note.GNU-stack","",@progbits
	.addrsig
	.addrsig_sym __hip_cuid_74831cc0d0b20c35
	.amdgpu_metadata
---
amdhsa.kernels:
  - .agpr_count:     26
    .args:
      - .actual_access:  read_only
        .address_space:  global
        .offset:         0
        .size:           8
        .value_kind:     global_buffer
      - .actual_access:  read_only
        .address_space:  global
        .offset:         8
        .size:           8
        .value_kind:     global_buffer
      - .actual_access:  read_only
        .address_space:  global
        .offset:         16
        .size:           8
        .value_kind:     global_buffer
      - .actual_access:  read_only
        .address_space:  global
        .offset:         24
        .size:           8
        .value_kind:     global_buffer
      - .actual_access:  read_only
        .address_space:  global
        .offset:         32
        .size:           8
        .value_kind:     global_buffer
      - .offset:         40
        .size:           8
        .value_kind:     by_value
      - .address_space:  global
        .offset:         48
        .size:           8
        .value_kind:     global_buffer
      - .address_space:  global
        .offset:         56
        .size:           8
        .value_kind:     global_buffer
      - .address_space:  global
        .offset:         64
        .size:           8
        .value_kind:     global_buffer
      - .address_space:  global
        .offset:         72
        .size:           8
        .value_kind:     global_buffer
      - .offset:         80
        .size:           4
        .value_kind:     by_value
      - .address_space:  global
        .offset:         88
        .size:           8
        .value_kind:     global_buffer
      - .address_space:  global
        .offset:         96
        .size:           8
        .value_kind:     global_buffer
    .group_segment_fixed_size: 16320
    .kernarg_segment_align: 8
    .kernarg_segment_size: 104
    .language:       OpenCL C
    .language_version:
      - 2
      - 0
    .max_flat_workgroup_size: 120
    .name:           bluestein_single_back_len17_dim1_sp_op_CI_CI
    .private_segment_fixed_size: 0
    .sgpr_count:     106
    .sgpr_spill_count: 22
    .symbol:         bluestein_single_back_len17_dim1_sp_op_CI_CI.kd
    .uniform_work_group_size: 1
    .uses_dynamic_stack: false
    .vgpr_count:     282
    .vgpr_spill_count: 0
    .wavefront_size: 64
amdhsa.target:   amdgcn-amd-amdhsa--gfx950
amdhsa.version:
  - 1
  - 2
...

	.end_amdgpu_metadata
